;; amdgpu-corpus repo=ROCm/rocFFT kind=compiled arch=gfx1201 opt=O3
	.text
	.amdgcn_target "amdgcn-amd-amdhsa--gfx1201"
	.amdhsa_code_object_version 6
	.protected	bluestein_single_fwd_len891_dim1_dp_op_CI_CI ; -- Begin function bluestein_single_fwd_len891_dim1_dp_op_CI_CI
	.globl	bluestein_single_fwd_len891_dim1_dp_op_CI_CI
	.p2align	8
	.type	bluestein_single_fwd_len891_dim1_dp_op_CI_CI,@function
bluestein_single_fwd_len891_dim1_dp_op_CI_CI: ; @bluestein_single_fwd_len891_dim1_dp_op_CI_CI
; %bb.0:
	s_load_b128 s[16:19], s[0:1], 0x28
	v_mul_u32_u24_e32 v1, 0x296, v0
	v_mov_b32_e32 v161, 0
	s_mov_b32 s2, exec_lo
	s_delay_alu instid0(VALU_DEP_2) | instskip(NEXT) | instid1(VALU_DEP_1)
	v_lshrrev_b32_e32 v37, 16, v1
	v_lshl_add_u32 v160, ttmp9, 1, v37
	s_wait_kmcnt 0x0
	s_delay_alu instid0(VALU_DEP_1)
	v_cmpx_gt_u64_e64 s[16:17], v[160:161]
	s_cbranch_execz .LBB0_10
; %bb.1:
	s_clause 0x1
	s_load_b128 s[4:7], s[0:1], 0x18
	s_load_b128 s[8:11], s[0:1], 0x0
	v_mul_lo_u16 v1, 0x63, v37
	v_and_b32_e32 v37, 1, v37
	s_mov_b32 s16, 0x42522d1b
	s_mov_b32 s17, 0xbfee11f6
	s_load_b64 s[0:1], s[0:1], 0x38
	v_sub_nc_u16 v36, v0, v1
	s_delay_alu instid0(VALU_DEP_1) | instskip(NEXT) | instid1(VALU_DEP_1)
	v_and_b32_e32 v211, 0xffff, v36
	v_lshlrev_b32_e32 v216, 4, v211
	s_wait_kmcnt 0x0
	s_load_b128 s[12:15], s[4:5], 0x0
	s_wait_kmcnt 0x0
	v_mad_co_u64_u32 v[0:1], null, s14, v160, 0
	v_mad_co_u64_u32 v[2:3], null, s12, v211, 0
	s_mul_u64 s[2:3], s[12:13], 0x630
	s_mov_b32 s12, 0x523c161c
	s_delay_alu instid0(VALU_DEP_1) | instskip(SKIP_2) | instid1(VALU_DEP_1)
	v_mad_co_u64_u32 v[4:5], null, s15, v160, v[1:2]
	s_mov_b32 s14, 0xa2cf5039
	s_mov_b32 s15, 0x3fe8836f
	v_mad_co_u64_u32 v[5:6], null, s13, v211, v[3:4]
	v_mov_b32_e32 v1, v4
	s_mov_b32 s13, 0x3fe491b7
	s_delay_alu instid0(VALU_DEP_1) | instskip(NEXT) | instid1(VALU_DEP_3)
	v_lshlrev_b64_e32 v[0:1], 4, v[0:1]
	v_mov_b32_e32 v3, v5
	s_delay_alu instid0(VALU_DEP_2) | instskip(NEXT) | instid1(VALU_DEP_2)
	v_add_co_u32 v10, vcc_lo, s18, v0
	v_lshlrev_b64_e32 v[8:9], 4, v[2:3]
	s_delay_alu instid0(VALU_DEP_4)
	v_add_co_ci_u32_e32 v11, vcc_lo, s19, v1, vcc_lo
	s_clause 0x1
	global_load_b128 v[0:3], v216, s[8:9]
	global_load_b128 v[4:7], v216, s[8:9] offset:1584
	v_add_co_u32 v24, vcc_lo, v10, v8
	s_wait_alu 0xfffd
	v_add_co_ci_u32_e32 v25, vcc_lo, v11, v9, vcc_lo
	s_clause 0x1
	global_load_b128 v[8:11], v216, s[8:9] offset:3168
	global_load_b128 v[12:15], v216, s[8:9] offset:4752
	v_add_co_u32 v26, vcc_lo, v24, s2
	s_wait_alu 0xfffd
	v_add_co_ci_u32_e32 v27, vcc_lo, s3, v25, vcc_lo
	s_clause 0x1
	global_load_b128 v[16:19], v216, s[8:9] offset:6336
	global_load_b128 v[20:23], v216, s[8:9] offset:7920
	v_add_co_u32 v28, vcc_lo, v26, s2
	s_wait_alu 0xfffd
	v_add_co_ci_u32_e32 v29, vcc_lo, s3, v27, vcc_lo
	s_clause 0x1
	global_load_b128 v[38:41], v[24:25], off
	global_load_b128 v[42:45], v[26:27], off
	v_add_co_u32 v30, vcc_lo, v28, s2
	s_wait_alu 0xfffd
	v_add_co_ci_u32_e32 v31, vcc_lo, s3, v29, vcc_lo
	s_clause 0x1
	global_load_b128 v[46:49], v[28:29], off
	global_load_b128 v[50:53], v[30:31], off
	v_add_co_u32 v24, vcc_lo, v30, s2
	s_wait_alu 0xfffd
	v_add_co_ci_u32_e32 v25, vcc_lo, s3, v31, vcc_lo
	s_delay_alu instid0(VALU_DEP_2) | instskip(SKIP_1) | instid1(VALU_DEP_2)
	v_add_co_u32 v26, vcc_lo, v24, s2
	s_wait_alu 0xfffd
	v_add_co_ci_u32_e32 v27, vcc_lo, s3, v25, vcc_lo
	global_load_b128 v[54:57], v[24:25], off
	v_add_co_u32 v24, vcc_lo, v26, s2
	s_wait_alu 0xfffd
	v_add_co_ci_u32_e32 v25, vcc_lo, s3, v27, vcc_lo
	global_load_b128 v[58:61], v[26:27], off
	v_add_co_u32 v32, vcc_lo, v24, s2
	s_wait_alu 0xfffd
	v_add_co_ci_u32_e32 v33, vcc_lo, s3, v25, vcc_lo
	global_load_b128 v[62:65], v[24:25], off
	v_add_co_u32 v70, vcc_lo, v32, s2
	s_wait_alu 0xfffd
	v_add_co_ci_u32_e32 v71, vcc_lo, s3, v33, vcc_lo
	s_clause 0x1
	global_load_b128 v[28:31], v216, s[8:9] offset:9504
	global_load_b128 v[24:27], v216, s[8:9] offset:11088
	global_load_b128 v[66:69], v[32:33], off
	global_load_b128 v[32:35], v216, s[8:9] offset:12672
	global_load_b128 v[70:73], v[70:71], off
	v_cmp_eq_u32_e32 vcc_lo, 1, v37
	s_load_b128 s[4:7], s[6:7], 0x0
	s_mov_b32 s2, 0x8c811c17
	s_mov_b32 s3, 0x3fef838b
	v_cndmask_b32_e64 v37, 0, 0x37b, vcc_lo
	v_cmp_gt_u16_e32 vcc_lo, 0x51, v36
	s_delay_alu instid0(VALU_DEP_2) | instskip(NEXT) | instid1(VALU_DEP_1)
	v_lshlrev_b32_e32 v213, 4, v37
	v_add_nc_u32_e32 v212, v213, v216
	s_wait_loadcnt 0xb
	v_mul_f64_e32 v[74:75], v[40:41], v[2:3]
	v_mul_f64_e32 v[76:77], v[38:39], v[2:3]
	s_wait_loadcnt 0xa
	v_mul_f64_e32 v[78:79], v[44:45], v[6:7]
	v_mul_f64_e32 v[80:81], v[42:43], v[6:7]
	;; [unrolled: 3-line block ×9, first 2 shown]
	v_fma_f64 v[38:39], v[38:39], v[0:1], v[74:75]
	v_fma_f64 v[40:41], v[40:41], v[0:1], -v[76:77]
	v_fma_f64 v[42:43], v[42:43], v[4:5], v[78:79]
	v_fma_f64 v[44:45], v[44:45], v[4:5], -v[80:81]
	;; [unrolled: 2-line block ×9, first 2 shown]
	ds_store_b128 v212, v[38:41]
	ds_store_b128 v212, v[42:45] offset:1584
	ds_store_b128 v212, v[46:49] offset:3168
	;; [unrolled: 1-line block ×8, first 2 shown]
	global_wb scope:SCOPE_SE
	s_wait_dscnt 0x0
	s_wait_kmcnt 0x0
	s_barrier_signal -1
	s_barrier_wait -1
	global_inv scope:SCOPE_SE
	ds_load_b128 v[37:40], v212 offset:1584
	ds_load_b128 v[41:44], v212 offset:12672
	;; [unrolled: 1-line block ×6, first 2 shown]
	s_wait_dscnt 0x4
	v_add_f64_e64 v[61:62], v[37:38], -v[41:42]
	v_add_f64_e64 v[63:64], v[39:40], -v[43:44]
	v_add_f64_e32 v[65:66], v[37:38], v[41:42]
	v_add_f64_e32 v[67:68], v[39:40], v[43:44]
	s_wait_dscnt 0x2
	v_add_f64_e32 v[69:70], v[45:46], v[49:50]
	v_add_f64_e64 v[71:72], v[45:46], -v[49:50]
	v_add_f64_e64 v[73:74], v[47:48], -v[51:52]
	s_wait_dscnt 0x0
	v_add_f64_e32 v[75:76], v[57:58], v[53:54]
	v_add_f64_e32 v[77:78], v[59:60], v[55:56]
	;; [unrolled: 1-line block ×3, first 2 shown]
	ds_load_b128 v[37:40], v212 offset:4752
	ds_load_b128 v[41:44], v212
	v_add_f64_e64 v[57:58], v[57:58], -v[53:54]
	v_add_f64_e64 v[59:60], v[59:60], -v[55:56]
	ds_load_b128 v[53:56], v212 offset:9504
	global_wb scope:SCOPE_SE
	s_wait_dscnt 0x0
	s_barrier_signal -1
	s_barrier_wait -1
	global_inv scope:SCOPE_SE
	v_add_f64_e32 v[105:106], v[37:38], v[53:54]
	v_add_f64_e32 v[107:108], v[39:40], v[55:56]
	v_add_f64_e64 v[37:38], v[37:38], -v[53:54]
	v_add_f64_e64 v[39:40], v[39:40], -v[55:56]
	v_mul_f64_e32 v[81:82], s[12:13], v[61:62]
	v_mul_f64_e32 v[83:84], s[12:13], v[63:64]
	s_mov_b32 s13, 0xbfe491b7
	v_fma_f64 v[85:86], v[65:66], s[14:15], v[41:42]
	v_fma_f64 v[87:88], v[67:68], s[14:15], v[43:44]
	v_fma_f64 v[89:90], v[69:70], s[14:15], v[41:42]
	s_wait_alu 0xfffe
	v_mul_f64_e32 v[91:92], s[2:3], v[71:72]
	v_mul_f64_e32 v[93:94], s[2:3], v[73:74]
	v_fma_f64 v[95:96], v[75:76], s[14:15], v[41:42]
	v_fma_f64 v[97:98], v[77:78], s[14:15], v[43:44]
	;; [unrolled: 1-line block ×3, first 2 shown]
	v_mul_f64_e32 v[101:102], s[12:13], v[73:74]
	v_mul_f64_e32 v[103:104], s[12:13], v[71:72]
	s_mov_b32 s14, 0x7e0b738b
	s_mov_b32 s15, 0x3fc63a1a
	v_add_f64_e32 v[109:110], v[75:76], v[65:66]
	v_add_f64_e32 v[111:112], v[77:78], v[67:68]
	;; [unrolled: 1-line block ×4, first 2 shown]
	v_fma_f64 v[53:54], v[57:58], s[2:3], v[81:82]
	v_fma_f64 v[55:56], v[59:60], s[2:3], v[83:84]
	s_wait_alu 0xfffe
	v_fma_f64 v[81:82], v[75:76], s[14:15], v[85:86]
	v_fma_f64 v[83:84], v[77:78], s[14:15], v[87:88]
	;; [unrolled: 1-line block ×3, first 2 shown]
	v_fma_f64 v[87:88], v[57:58], s[12:13], -v[91:92]
	v_fma_f64 v[89:90], v[59:60], s[12:13], -v[93:94]
	v_fma_f64 v[91:92], v[69:70], s[14:15], v[95:96]
	v_fma_f64 v[93:94], v[79:80], s[14:15], v[97:98]
	;; [unrolled: 1-line block ×5, first 2 shown]
	s_mov_b32 s2, 0xe8584cab
	s_mov_b32 s3, 0x3febb67a
	;; [unrolled: 1-line block ×3, first 2 shown]
	s_wait_alu 0xfffe
	s_mov_b32 s12, s2
	v_add_f64_e32 v[101:102], v[71:72], v[61:62]
	v_add_f64_e32 v[103:104], v[73:74], v[63:64]
	;; [unrolled: 1-line block ×6, first 2 shown]
	s_mov_b32 s14, 0x748a0bf8
	s_mov_b32 s15, 0x3fd5e3a8
	v_fma_f64 v[53:54], v[37:38], s[2:3], v[53:54]
	v_fma_f64 v[55:56], v[39:40], s[2:3], v[55:56]
	v_fma_f64 v[81:82], v[105:106], -0.5, v[81:82]
	v_fma_f64 v[83:84], v[107:108], -0.5, v[83:84]
	;; [unrolled: 1-line block ×3, first 2 shown]
	v_fma_f64 v[87:88], v[37:38], s[2:3], v[87:88]
	v_fma_f64 v[89:90], v[39:40], s[2:3], v[89:90]
	v_fma_f64 v[91:92], v[105:106], -0.5, v[91:92]
	v_fma_f64 v[93:94], v[107:108], -0.5, v[93:94]
	;; [unrolled: 1-line block ×3, first 2 shown]
	s_wait_alu 0xfffe
	v_fma_f64 v[39:40], v[39:40], s[12:13], v[97:98]
	v_fma_f64 v[37:38], v[37:38], s[12:13], v[99:100]
	v_add_f64_e64 v[97:98], v[101:102], -v[57:58]
	v_add_f64_e64 v[99:100], v[103:104], -v[59:60]
	v_fma_f64 v[101:102], v[117:118], -0.5, v[113:114]
	v_fma_f64 v[103:104], v[119:120], -0.5, v[115:116]
	v_add_f64_e32 v[45:46], v[45:46], v[109:110]
	v_add_f64_e32 v[47:48], v[47:48], v[111:112]
                                        ; implicit-def: $vgpr112_vgpr113
                                        ; implicit-def: $vgpr116_vgpr117
	v_fma_f64 v[53:54], v[71:72], s[14:15], v[53:54]
	v_fma_f64 v[55:56], v[73:74], s[14:15], v[55:56]
	;; [unrolled: 1-line block ×12, first 2 shown]
	v_mul_f64_e32 v[57:58], s[2:3], v[97:98]
	v_mul_f64_e32 v[59:60], s[2:3], v[99:100]
	v_fma_f64 v[92:93], v[99:100], s[2:3], v[101:102]
	v_fma_f64 v[94:95], v[97:98], s[12:13], v[103:104]
	v_add_f64_e32 v[45:46], v[49:50], v[45:46]
	v_add_f64_e32 v[47:48], v[51:52], v[47:48]
	v_add_co_u32 v124, s2, s8, v216
	s_wait_alu 0xf1ff
	v_add_co_ci_u32_e64 v125, null, s9, 0, s2
	v_add_f64_e32 v[96:97], v[55:56], v[69:70]
	v_add_f64_e64 v[98:99], v[71:72], -v[53:54]
	v_add_f64_e32 v[88:89], v[63:64], v[65:66]
	v_add_f64_e64 v[90:91], v[67:68], -v[61:62]
	;; [unrolled: 2-line block ×3, first 2 shown]
	v_fma_f64 v[84:85], v[59:60], -2.0, v[92:93]
	v_fma_f64 v[86:87], v[57:58], 2.0, v[94:95]
	v_add_f64_e32 v[76:77], v[41:42], v[45:46]
	v_add_f64_e32 v[78:79], v[43:44], v[47:48]
	v_fma_f64 v[108:109], v[55:56], -2.0, v[96:97]
	v_fma_f64 v[110:111], v[53:54], 2.0, v[98:99]
	v_fma_f64 v[80:81], v[63:64], -2.0, v[88:89]
	v_fma_f64 v[82:83], v[61:62], 2.0, v[90:91]
	;; [unrolled: 2-line block ×3, first 2 shown]
	v_mul_lo_u16 v37, v36, 9
	s_delay_alu instid0(VALU_DEP_1) | instskip(NEXT) | instid1(VALU_DEP_1)
	v_and_b32_e32 v36, 0xffff, v37
	v_lshl_add_u32 v217, v36, 4, v213
	ds_store_b128 v217, v[76:79]
	ds_store_b128 v217, v[96:99] offset:16
	ds_store_b128 v217, v[104:107] offset:32
	;; [unrolled: 1-line block ×8, first 2 shown]
	global_wb scope:SCOPE_SE
	s_wait_dscnt 0x0
	s_barrier_signal -1
	s_barrier_wait -1
	global_inv scope:SCOPE_SE
	s_and_saveexec_b32 s2, vcc_lo
	s_cbranch_execz .LBB0_3
; %bb.2:
	ds_load_b128 v[76:79], v212
	ds_load_b128 v[96:99], v212 offset:1296
	ds_load_b128 v[104:107], v212 offset:2592
	;; [unrolled: 1-line block ×10, first 2 shown]
.LBB0_3:
	s_wait_alu 0xfffe
	s_or_b32 exec_lo, exec_lo, s2
	v_and_b32_e32 v36, 0xff, v211
	s_mov_b32 s12, 0xf8bb580b
	s_mov_b32 s2, 0x8eee2c13
	s_mov_b32 s13, 0xbfe14ced
	s_mov_b32 s3, 0xbfed1bb4
	v_mul_lo_u16 v36, v36, 57
	s_mov_b32 s16, 0x8764f0ba
	s_mov_b32 s14, 0xd9c712b6
	;; [unrolled: 1-line block ×4, first 2 shown]
	v_lshrrev_b16 v215, 9, v36
	s_mov_b32 s15, 0x3fda9628
	s_mov_b32 s21, 0xbfe82f19
	;; [unrolled: 1-line block ×4, first 2 shown]
	v_mul_lo_u16 v36, v215, 9
	s_mov_b32 s26, 0xfd768dbf
	s_mov_b32 s19, 0xbfe4f49e
	;; [unrolled: 1-line block ×4, first 2 shown]
	v_sub_nc_u16 v36, v211, v36
	s_mov_b32 s28, 0x640f44db
	s_mov_b32 s24, 0x9bcd5057
	;; [unrolled: 1-line block ×4, first 2 shown]
	v_and_b32_e32 v214, 0xff, v36
	s_mov_b32 s37, 0x3fefac9e
	s_mov_b32 s36, s22
	s_mov_b32 s31, 0xbfd207e7
	s_mov_b32 s35, 0x3fe14ced
	v_mul_u32_u24_e32 v36, 10, v214
	s_mov_b32 s30, s26
	s_wait_alu 0xfffe
	s_mov_b32 s34, s12
	v_and_b32_e32 v215, 0xffff, v215
	v_lshlrev_b32_e32 v68, 4, v36
	s_clause 0x9
	global_load_b128 v[36:39], v68, s[10:11]
	global_load_b128 v[40:43], v68, s[10:11] offset:144
	global_load_b128 v[44:47], v68, s[10:11] offset:16
	;; [unrolled: 1-line block ×9, first 2 shown]
	global_wb scope:SCOPE_SE
	s_wait_loadcnt_dscnt 0x0
	s_barrier_signal -1
	s_barrier_wait -1
	global_inv scope:SCOPE_SE
	v_mul_f64_e32 v[120:121], v[98:99], v[38:39]
	v_mul_f64_e32 v[122:123], v[96:97], v[38:39]
	;; [unrolled: 1-line block ×9, first 2 shown]
	v_fma_f64 v[185:186], v[96:97], v[36:37], -v[120:121]
	v_fma_f64 v[187:188], v[98:99], v[36:37], v[122:123]
	v_fma_f64 v[98:99], v[118:119], v[40:41], v[126:127]
	v_fma_f64 v[96:97], v[116:117], v[40:41], -v[128:129]
	v_mul_f64_e32 v[116:117], v[94:95], v[58:59]
	v_mul_f64_e32 v[118:119], v[92:93], v[58:59]
	;; [unrolled: 1-line block ×4, first 2 shown]
	v_fma_f64 v[126:127], v[104:105], v[44:45], -v[130:131]
	v_fma_f64 v[128:129], v[106:107], v[44:45], v[132:133]
	v_fma_f64 v[106:107], v[114:115], v[48:49], v[134:135]
	v_fma_f64 v[104:105], v[112:113], v[48:49], -v[136:137]
	v_mul_f64_e32 v[132:133], v[90:91], v[66:67]
	v_mul_f64_e32 v[134:135], v[88:89], v[66:67]
	;; [unrolled: 1-line block ×3, first 2 shown]
	v_add_f64_e64 v[195:196], v[187:188], -v[98:99]
	v_add_f64_e64 v[197:198], v[185:186], -v[96:97]
	v_fma_f64 v[112:113], v[92:93], v[56:57], -v[116:117]
	v_fma_f64 v[114:115], v[94:95], v[56:57], v[118:119]
	v_fma_f64 v[94:95], v[110:111], v[52:53], v[120:121]
	v_fma_f64 v[92:93], v[108:109], v[52:53], -v[122:123]
	v_add_f64_e32 v[201:202], v[185:186], v[96:97]
	v_add_f64_e32 v[203:204], v[187:188], v[98:99]
	v_add_f64_e64 v[138:139], v[128:129], -v[106:107]
	v_add_f64_e64 v[130:131], v[126:127], -v[104:105]
	v_mul_f64_e32 v[116:117], v[82:83], v[74:75]
	v_mul_f64_e32 v[118:119], v[80:81], v[74:75]
	;; [unrolled: 1-line block ×4, first 2 shown]
	v_fma_f64 v[108:109], v[88:89], v[64:65], -v[132:133]
	v_fma_f64 v[110:111], v[90:91], v[64:65], v[134:135]
	v_fma_f64 v[88:89], v[100:101], v[60:61], -v[136:137]
	v_fma_f64 v[90:91], v[102:103], v[60:61], v[140:141]
	v_add_f64_e32 v[102:103], v[126:127], v[104:105]
	v_add_f64_e32 v[134:135], v[128:129], v[106:107]
	v_mul_f64_e32 v[199:200], s[12:13], v[195:196]
	v_mul_f64_e32 v[205:206], s[12:13], v[197:198]
	;; [unrolled: 1-line block ×4, first 2 shown]
	v_add_f64_e64 v[144:145], v[114:115], -v[94:95]
	v_add_f64_e64 v[140:141], v[112:113], -v[92:93]
	v_add_f64_e32 v[142:143], v[114:115], v[94:95]
	v_mul_f64_e32 v[132:133], s[2:3], v[138:139]
	v_mul_f64_e32 v[136:137], s[2:3], v[130:131]
	;; [unrolled: 1-line block ×4, first 2 shown]
	v_fma_f64 v[80:81], v[80:81], v[72:73], -v[116:117]
	v_fma_f64 v[100:101], v[82:83], v[72:73], v[118:119]
	v_fma_f64 v[82:83], v[84:85], v[68:69], -v[120:121]
	v_fma_f64 v[84:85], v[86:87], v[68:69], v[122:123]
	v_add_f64_e32 v[86:87], v[112:113], v[92:93]
	v_add_f64_e64 v[152:153], v[108:109], -v[88:89]
	v_add_f64_e64 v[161:162], v[110:111], -v[90:91]
	v_fma_f64 v[150:151], v[201:202], s[16:17], v[199:200]
	v_fma_f64 v[154:155], v[203:204], s[16:17], -v[205:206]
	v_fma_f64 v[156:157], v[201:202], s[14:15], v[207:208]
	v_fma_f64 v[158:159], v[203:204], s[14:15], -v[209:210]
	v_mul_f64_e32 v[146:147], s[22:23], v[144:145]
	v_mul_f64_e32 v[148:149], s[22:23], v[140:141]
	;; [unrolled: 1-line block ×4, first 2 shown]
	v_fma_f64 v[116:117], v[102:103], s[14:15], v[132:133]
	v_fma_f64 v[118:119], v[134:135], s[14:15], -v[136:137]
	v_fma_f64 v[120:121], v[102:103], s[18:19], v[173:174]
	v_fma_f64 v[122:123], v[134:135], s[18:19], -v[175:176]
	v_add_f64_e64 v[169:170], v[80:81], -v[82:83]
	v_add_f64_e64 v[177:178], v[100:101], -v[84:85]
	v_mul_f64_e32 v[189:190], s[36:37], v[152:153]
	v_mul_f64_e32 v[183:184], s[36:37], v[161:162]
	v_add_f64_e32 v[163:164], v[76:77], v[150:151]
	v_add_f64_e32 v[165:166], v[78:79], v[154:155]
	;; [unrolled: 1-line block ×6, first 2 shown]
	v_mul_f64_e32 v[156:157], s[20:21], v[161:162]
	v_mul_f64_e32 v[158:159], s[20:21], v[152:153]
	v_fma_f64 v[218:219], v[86:87], s[28:29], v[146:147]
	v_fma_f64 v[220:221], v[142:143], s[28:29], -v[148:149]
	v_fma_f64 v[222:223], v[86:87], s[24:25], v[179:180]
	v_fma_f64 v[224:225], v[142:143], s[24:25], -v[181:182]
	v_mul_f64_e32 v[193:194], s[34:35], v[169:170]
	v_mul_f64_e32 v[191:192], s[34:35], v[177:178]
	v_add_f64_e32 v[116:117], v[116:117], v[163:164]
	v_add_f64_e32 v[118:119], v[118:119], v[165:166]
	;; [unrolled: 1-line block ×6, first 2 shown]
	v_mul_f64_e32 v[165:166], s[30:31], v[177:178]
	v_mul_f64_e32 v[171:172], s[30:31], v[169:170]
	v_fma_f64 v[226:227], v[150:151], s[18:19], v[156:157]
	v_fma_f64 v[228:229], v[154:155], s[18:19], -v[158:159]
	v_fma_f64 v[230:231], v[150:151], s[28:29], v[183:184]
	v_fma_f64 v[232:233], v[154:155], s[28:29], -v[189:190]
	v_add_f64_e32 v[116:117], v[218:219], v[116:117]
	v_add_f64_e32 v[118:119], v[220:221], v[118:119]
	v_add_f64_e32 v[120:121], v[222:223], v[120:121]
	v_add_f64_e32 v[122:123], v[224:225], v[122:123]
	v_fma_f64 v[222:223], v[163:164], s[16:17], v[191:192]
	v_fma_f64 v[224:225], v[167:168], s[16:17], -v[193:194]
	v_fma_f64 v[218:219], v[163:164], s[24:25], v[165:166]
	v_fma_f64 v[220:221], v[167:168], s[24:25], -v[171:172]
	v_add_f64_e32 v[116:117], v[226:227], v[116:117]
	v_add_f64_e32 v[118:119], v[228:229], v[118:119]
	;; [unrolled: 1-line block ×4, first 2 shown]
	s_delay_alu instid0(VALU_DEP_4) | instskip(NEXT) | instid1(VALU_DEP_4)
	v_add_f64_e32 v[120:121], v[218:219], v[116:117]
	v_add_f64_e32 v[122:123], v[220:221], v[118:119]
	s_delay_alu instid0(VALU_DEP_4) | instskip(NEXT) | instid1(VALU_DEP_4)
	v_add_f64_e32 v[116:117], v[222:223], v[226:227]
	v_add_f64_e32 v[118:119], v[224:225], v[228:229]
	s_and_saveexec_b32 s33, vcc_lo
	s_cbranch_execz .LBB0_5
; %bb.4:
	v_mul_f64_e32 v[218:219], s[14:15], v[203:204]
	v_mul_f64_e32 v[222:223], s[18:19], v[203:204]
	;; [unrolled: 1-line block ×3, first 2 shown]
	s_mov_b32 s39, 0x3fe82f19
	s_mov_b32 s38, s20
	v_add_f64_e32 v[236:237], v[76:77], v[185:186]
	s_mov_b32 s41, 0x3fed1bb4
	s_mov_b32 s40, s2
	v_mul_f64_e32 v[244:245], s[28:29], v[167:168]
	v_mul_f64_e32 v[246:247], s[22:23], v[177:178]
	v_add_f64_e32 v[209:210], v[209:210], v[218:219]
	v_mul_f64_e32 v[218:219], s[14:15], v[201:202]
	v_fma_f64 v[224:225], v[197:198], s[38:39], v[222:223]
	v_fma_f64 v[222:223], v[197:198], s[20:21], v[222:223]
	;; [unrolled: 1-line block ×3, first 2 shown]
	v_add_f64_e32 v[209:210], v[78:79], v[209:210]
	v_add_f64_e64 v[207:208], v[218:219], -v[207:208]
	v_mul_f64_e32 v[218:219], s[24:25], v[203:204]
	v_mul_f64_e32 v[203:204], s[16:17], v[203:204]
	v_add_f64_e32 v[222:223], v[78:79], v[222:223]
	s_delay_alu instid0(VALU_DEP_4) | instskip(NEXT) | instid1(VALU_DEP_4)
	v_add_f64_e32 v[207:208], v[76:77], v[207:208]
	v_fma_f64 v[220:221], v[197:198], s[26:27], v[218:219]
	v_fma_f64 v[218:219], v[197:198], s[30:31], v[218:219]
	;; [unrolled: 1-line block ×3, first 2 shown]
	v_add_f64_e32 v[203:204], v[205:206], v[203:204]
	v_mul_f64_e32 v[205:206], s[30:31], v[195:196]
	v_mul_f64_e32 v[226:227], s[20:21], v[195:196]
	;; [unrolled: 1-line block ×3, first 2 shown]
	v_add_f64_e32 v[185:186], v[78:79], v[220:221]
	v_add_f64_e32 v[220:221], v[78:79], v[224:225]
	;; [unrolled: 1-line block ×4, first 2 shown]
	v_fma_f64 v[230:231], v[201:202], s[24:25], v[205:206]
	v_fma_f64 v[205:206], v[201:202], s[24:25], -v[205:206]
	v_fma_f64 v[232:233], v[201:202], s[18:19], -v[226:227]
	v_fma_f64 v[226:227], v[201:202], s[18:19], v[226:227]
	v_fma_f64 v[234:235], v[201:202], s[28:29], -v[195:196]
	v_fma_f64 v[195:196], v[201:202], s[28:29], v[195:196]
	v_mul_f64_e32 v[201:202], s[16:17], v[201:202]
	v_add_f64_e32 v[197:198], v[78:79], v[197:198]
	v_add_f64_e32 v[203:204], v[78:79], v[203:204]
	;; [unrolled: 1-line block ×5, first 2 shown]
	v_add_f64_e64 v[199:200], v[201:202], -v[199:200]
	v_add_f64_e32 v[201:202], v[78:79], v[187:188]
	v_add_f64_e32 v[187:188], v[76:77], v[230:231]
	;; [unrolled: 1-line block ×4, first 2 shown]
	v_mul_f64_e32 v[195:196], s[16:17], v[134:135]
	v_add_f64_e32 v[199:200], v[76:77], v[199:200]
	s_delay_alu instid0(VALU_DEP_2) | instskip(SKIP_1) | instid1(VALU_DEP_2)
	v_fma_f64 v[76:77], v[130:131], s[12:13], v[195:196]
	v_fma_f64 v[195:196], v[130:131], s[34:35], v[195:196]
	v_add_f64_e32 v[76:77], v[76:77], v[185:186]
	v_mul_f64_e32 v[185:186], s[34:35], v[138:139]
	s_delay_alu instid0(VALU_DEP_3) | instskip(SKIP_1) | instid1(VALU_DEP_3)
	v_add_f64_e32 v[195:196], v[195:196], v[218:219]
	v_mul_f64_e32 v[218:219], s[16:17], v[154:155]
	v_fma_f64 v[78:79], v[102:103], s[16:17], v[185:186]
	v_fma_f64 v[185:186], v[102:103], s[16:17], -v[185:186]
	s_delay_alu instid0(VALU_DEP_2) | instskip(SKIP_1) | instid1(VALU_DEP_3)
	v_add_f64_e32 v[78:79], v[78:79], v[187:188]
	v_mul_f64_e32 v[187:188], s[18:19], v[142:143]
	v_add_f64_e32 v[185:186], v[185:186], v[205:206]
	v_fma_f64 v[205:206], v[163:164], s[28:29], -v[246:247]
	s_delay_alu instid0(VALU_DEP_3) | instskip(SKIP_1) | instid1(VALU_DEP_2)
	v_fma_f64 v[234:235], v[140:141], s[38:39], v[187:188]
	v_fma_f64 v[187:188], v[140:141], s[20:21], v[187:188]
	v_add_f64_e32 v[76:77], v[234:235], v[76:77]
	v_mul_f64_e32 v[234:235], s[20:21], v[144:145]
	s_delay_alu instid0(VALU_DEP_3) | instskip(NEXT) | instid1(VALU_DEP_2)
	v_add_f64_e32 v[187:188], v[187:188], v[195:196]
	v_fma_f64 v[238:239], v[86:87], s[18:19], v[234:235]
	v_fma_f64 v[195:196], v[86:87], s[18:19], -v[234:235]
	v_mul_f64_e32 v[234:235], s[20:21], v[177:178]
	v_mul_f64_e32 v[177:178], s[40:41], v[177:178]
	s_delay_alu instid0(VALU_DEP_4) | instskip(SKIP_2) | instid1(VALU_DEP_2)
	v_add_f64_e32 v[78:79], v[238:239], v[78:79]
	v_mul_f64_e32 v[238:239], s[14:15], v[154:155]
	v_add_f64_e32 v[185:186], v[195:196], v[185:186]
	v_fma_f64 v[240:241], v[152:153], s[2:3], v[238:239]
	v_fma_f64 v[195:196], v[152:153], s[40:41], v[238:239]
	v_mul_f64_e32 v[238:239], s[14:15], v[167:168]
	s_delay_alu instid0(VALU_DEP_3) | instskip(SKIP_1) | instid1(VALU_DEP_4)
	v_add_f64_e32 v[76:77], v[240:241], v[76:77]
	v_mul_f64_e32 v[240:241], s[40:41], v[161:162]
	v_add_f64_e32 v[187:188], v[195:196], v[187:188]
	s_delay_alu instid0(VALU_DEP_2) | instskip(SKIP_1) | instid1(VALU_DEP_2)
	v_fma_f64 v[195:196], v[150:151], s[14:15], -v[240:241]
	v_fma_f64 v[242:243], v[150:151], s[14:15], v[240:241]
	v_add_f64_e32 v[185:186], v[195:196], v[185:186]
	v_fma_f64 v[195:196], v[169:170], s[22:23], v[244:245]
	s_delay_alu instid0(VALU_DEP_3) | instskip(SKIP_1) | instid1(VALU_DEP_4)
	v_add_f64_e32 v[242:243], v[242:243], v[78:79]
	v_fma_f64 v[78:79], v[169:170], s[36:37], v[244:245]
	v_add_f64_e32 v[185:186], v[205:206], v[185:186]
	s_delay_alu instid0(VALU_DEP_4)
	v_add_f64_e32 v[187:188], v[195:196], v[187:188]
	v_mul_f64_e32 v[195:196], s[18:19], v[134:135]
	v_mul_f64_e32 v[205:206], s[26:27], v[138:139]
	;; [unrolled: 1-line block ×3, first 2 shown]
	v_add_f64_e32 v[78:79], v[78:79], v[76:77]
	v_fma_f64 v[76:77], v[163:164], s[28:29], v[246:247]
	v_add_f64_e32 v[175:176], v[175:176], v[195:196]
	v_mul_f64_e32 v[195:196], s[18:19], v[102:103]
	s_delay_alu instid0(VALU_DEP_3) | instskip(NEXT) | instid1(VALU_DEP_3)
	v_add_f64_e32 v[76:77], v[76:77], v[242:243]
	v_add_f64_e32 v[175:176], v[175:176], v[209:210]
	s_delay_alu instid0(VALU_DEP_3) | instskip(SKIP_3) | instid1(VALU_DEP_4)
	v_add_f64_e64 v[173:174], v[195:196], -v[173:174]
	v_mul_f64_e32 v[195:196], s[24:25], v[142:143]
	v_mul_f64_e32 v[209:210], s[40:41], v[144:145]
	;; [unrolled: 1-line block ×3, first 2 shown]
	v_add_f64_e32 v[173:174], v[173:174], v[207:208]
	s_delay_alu instid0(VALU_DEP_4) | instskip(SKIP_2) | instid1(VALU_DEP_3)
	v_add_f64_e32 v[181:182], v[181:182], v[195:196]
	v_mul_f64_e32 v[195:196], s[24:25], v[86:87]
	v_mul_f64_e32 v[207:208], s[14:15], v[142:143]
	v_add_f64_e32 v[175:176], v[181:182], v[175:176]
	s_delay_alu instid0(VALU_DEP_3) | instskip(SKIP_2) | instid1(VALU_DEP_3)
	v_add_f64_e64 v[179:180], v[195:196], -v[179:180]
	v_mul_f64_e32 v[195:196], s[28:29], v[154:155]
	v_fma_f64 v[181:182], v[102:103], s[24:25], -v[205:206]
	v_add_f64_e32 v[173:174], v[179:180], v[173:174]
	s_delay_alu instid0(VALU_DEP_3)
	v_add_f64_e32 v[189:190], v[189:190], v[195:196]
	v_mul_f64_e32 v[195:196], s[28:29], v[150:151]
	v_mul_f64_e32 v[179:180], s[16:17], v[163:164]
	v_add_f64_e32 v[181:182], v[181:182], v[228:229]
	v_mul_f64_e32 v[228:229], s[18:19], v[167:168]
	v_add_f64_e32 v[175:176], v[189:190], v[175:176]
	v_add_f64_e64 v[183:184], v[195:196], -v[183:184]
	v_add_f64_e64 v[179:180], v[179:180], -v[191:192]
	v_fma_f64 v[189:190], v[140:141], s[40:41], v[207:208]
	v_mul_f64_e32 v[195:196], s[16:17], v[167:168]
	v_fma_f64 v[191:192], v[102:103], s[28:29], -v[138:139]
	v_fma_f64 v[138:139], v[102:103], s[28:29], v[138:139]
	v_add_f64_e32 v[173:174], v[183:184], v[173:174]
	v_mul_f64_e32 v[183:184], s[24:25], v[134:135]
	v_add_f64_e32 v[193:194], v[193:194], v[195:196]
	v_mul_f64_e32 v[195:196], s[16:17], v[142:143]
	v_add_f64_e32 v[191:192], v[191:192], v[230:231]
	v_add_f64_e32 v[138:139], v[138:139], v[226:227]
	;; [unrolled: 1-line block ×3, first 2 shown]
	v_fma_f64 v[179:180], v[130:131], s[26:27], v[183:184]
	v_add_f64_e32 v[175:176], v[193:194], v[175:176]
	v_mul_f64_e32 v[193:194], s[28:29], v[134:135]
	s_delay_alu instid0(VALU_DEP_3) | instskip(SKIP_2) | instid1(VALU_DEP_3)
	v_add_f64_e32 v[179:180], v[179:180], v[224:225]
	v_mul_f64_e32 v[224:225], s[12:13], v[161:162]
	v_mul_f64_e32 v[161:162], s[30:31], v[161:162]
	v_add_f64_e32 v[179:180], v[189:190], v[179:180]
	v_fma_f64 v[189:190], v[86:87], s[14:15], -v[209:210]
	s_delay_alu instid0(VALU_DEP_1) | instskip(SKIP_1) | instid1(VALU_DEP_1)
	v_add_f64_e32 v[181:182], v[189:190], v[181:182]
	v_fma_f64 v[189:190], v[152:153], s[12:13], v[218:219]
	v_add_f64_e32 v[179:180], v[189:190], v[179:180]
	v_fma_f64 v[189:190], v[150:151], s[16:17], -v[224:225]
	s_delay_alu instid0(VALU_DEP_1) | instskip(SKIP_1) | instid1(VALU_DEP_1)
	v_add_f64_e32 v[189:190], v[189:190], v[181:182]
	v_fma_f64 v[181:182], v[169:170], s[20:21], v[228:229]
	v_add_f64_e32 v[181:182], v[181:182], v[179:180]
	v_fma_f64 v[179:180], v[163:164], s[18:19], -v[234:235]
	s_delay_alu instid0(VALU_DEP_1) | instskip(SKIP_3) | instid1(VALU_DEP_3)
	v_add_f64_e32 v[179:180], v[179:180], v[189:190]
	v_fma_f64 v[189:190], v[130:131], s[36:37], v[193:194]
	v_fma_f64 v[193:194], v[130:131], s[22:23], v[193:194]
	;; [unrolled: 1-line block ×3, first 2 shown]
	v_add_f64_e32 v[189:190], v[189:190], v[222:223]
	v_fma_f64 v[222:223], v[140:141], s[12:13], v[195:196]
	s_delay_alu instid0(VALU_DEP_4) | instskip(SKIP_2) | instid1(VALU_DEP_4)
	v_add_f64_e32 v[193:194], v[193:194], v[220:221]
	v_fma_f64 v[195:196], v[140:141], s[34:35], v[195:196]
	v_add_f64_e32 v[130:131], v[130:131], v[197:198]
	v_add_f64_e32 v[189:190], v[222:223], v[189:190]
	v_fma_f64 v[222:223], v[86:87], s[16:17], -v[144:145]
	v_fma_f64 v[144:145], v[86:87], s[16:17], v[144:145]
	v_add_f64_e32 v[193:194], v[195:196], v[193:194]
	s_delay_alu instid0(VALU_DEP_3) | instskip(SKIP_1) | instid1(VALU_DEP_4)
	v_add_f64_e32 v[191:192], v[222:223], v[191:192]
	v_mul_f64_e32 v[222:223], s[24:25], v[154:155]
	v_add_f64_e32 v[138:139], v[144:145], v[138:139]
	s_delay_alu instid0(VALU_DEP_2) | instskip(SKIP_1) | instid1(VALU_DEP_2)
	v_fma_f64 v[230:231], v[152:153], s[30:31], v[222:223]
	v_fma_f64 v[144:145], v[152:153], s[26:27], v[222:223]
	v_add_f64_e32 v[189:190], v[230:231], v[189:190]
	v_fma_f64 v[230:231], v[150:151], s[24:25], -v[161:162]
	v_fma_f64 v[161:162], v[150:151], s[24:25], v[161:162]
	s_delay_alu instid0(VALU_DEP_4) | instskip(NEXT) | instid1(VALU_DEP_3)
	v_add_f64_e32 v[144:145], v[144:145], v[193:194]
	v_add_f64_e32 v[230:231], v[230:231], v[191:192]
	v_fma_f64 v[191:192], v[169:170], s[40:41], v[238:239]
	s_delay_alu instid0(VALU_DEP_4) | instskip(SKIP_1) | instid1(VALU_DEP_3)
	v_add_f64_e32 v[138:139], v[161:162], v[138:139]
	v_fma_f64 v[161:162], v[169:170], s[2:3], v[238:239]
	v_add_f64_e32 v[191:192], v[191:192], v[189:190]
	v_fma_f64 v[189:190], v[163:164], s[14:15], -v[177:178]
	v_fma_f64 v[177:178], v[163:164], s[14:15], v[177:178]
	s_delay_alu instid0(VALU_DEP_4) | instskip(SKIP_1) | instid1(VALU_DEP_4)
	v_add_f64_e32 v[195:196], v[161:162], v[144:145]
	v_fma_f64 v[144:145], v[169:170], s[38:39], v[228:229]
	v_add_f64_e32 v[189:190], v[189:190], v[230:231]
	s_delay_alu instid0(VALU_DEP_4) | instskip(SKIP_4) | instid1(VALU_DEP_4)
	v_add_f64_e32 v[193:194], v[177:178], v[138:139]
	v_fma_f64 v[138:139], v[140:141], s[2:3], v[207:208]
	v_fma_f64 v[140:141], v[152:153], s[34:35], v[218:219]
	v_fma_f64 v[152:153], v[102:103], s[24:25], v[205:206]
	v_mul_f64_e32 v[102:103], s[14:15], v[102:103]
	v_add_f64_e32 v[130:131], v[138:139], v[130:131]
	v_fma_f64 v[138:139], v[86:87], s[14:15], v[209:210]
	s_delay_alu instid0(VALU_DEP_4) | instskip(NEXT) | instid1(VALU_DEP_4)
	v_add_f64_e32 v[152:153], v[152:153], v[232:233]
	v_add_f64_e64 v[102:103], v[102:103], -v[132:133]
	v_mul_f64_e32 v[132:133], s[28:29], v[142:143]
	v_mul_f64_e32 v[86:87], s[28:29], v[86:87]
	;; [unrolled: 1-line block ×3, first 2 shown]
	v_add_f64_e32 v[130:131], v[140:141], v[130:131]
	v_fma_f64 v[140:141], v[150:151], s[16:17], v[224:225]
	v_add_f64_e32 v[138:139], v[138:139], v[152:153]
	v_add_f64_e32 v[102:103], v[102:103], v[199:200]
	;; [unrolled: 1-line block ×3, first 2 shown]
	v_add_f64_e64 v[86:87], v[86:87], -v[146:147]
	v_add_f64_e32 v[142:143], v[171:172], v[142:143]
	v_fma_f64 v[152:153], v[163:164], s[18:19], v[234:235]
	v_add_f64_e32 v[138:139], v[140:141], v[138:139]
	v_add_f64_e32 v[140:141], v[144:145], v[130:131]
	v_mul_f64_e32 v[130:131], s[14:15], v[134:135]
	v_mul_f64_e32 v[134:135], s[18:19], v[154:155]
	v_add_f64_e32 v[86:87], v[86:87], v[102:103]
	v_mul_f64_e32 v[102:103], s[24:25], v[163:164]
	v_add_f64_e32 v[138:139], v[152:153], v[138:139]
	v_add_f64_e32 v[130:131], v[136:137], v[130:131]
	v_mul_f64_e32 v[136:137], s[18:19], v[150:151]
	v_add_f64_e32 v[134:135], v[158:159], v[134:135]
	v_add_f64_e64 v[102:103], v[102:103], -v[165:166]
	s_delay_alu instid0(VALU_DEP_4) | instskip(NEXT) | instid1(VALU_DEP_4)
	v_add_f64_e32 v[130:131], v[130:131], v[203:204]
	v_add_f64_e64 v[136:137], v[136:137], -v[156:157]
	s_delay_alu instid0(VALU_DEP_2) | instskip(NEXT) | instid1(VALU_DEP_2)
	v_add_f64_e32 v[130:131], v[132:133], v[130:131]
	v_add_f64_e32 v[86:87], v[136:137], v[86:87]
	s_delay_alu instid0(VALU_DEP_2) | instskip(NEXT) | instid1(VALU_DEP_1)
	v_add_f64_e32 v[130:131], v[134:135], v[130:131]
	v_add_f64_e32 v[132:133], v[142:143], v[130:131]
	s_delay_alu instid0(VALU_DEP_3) | instskip(SKIP_2) | instid1(VALU_DEP_2)
	v_add_f64_e32 v[130:131], v[102:103], v[86:87]
	v_add_f64_e32 v[86:87], v[201:202], v[128:129]
	;; [unrolled: 1-line block ×4, first 2 shown]
	s_delay_alu instid0(VALU_DEP_2) | instskip(NEXT) | instid1(VALU_DEP_2)
	v_add_f64_e32 v[102:103], v[102:103], v[112:113]
	v_add_f64_e32 v[86:87], v[86:87], v[110:111]
	s_delay_alu instid0(VALU_DEP_2) | instskip(NEXT) | instid1(VALU_DEP_2)
	v_add_f64_e32 v[102:103], v[102:103], v[108:109]
	v_add_f64_e32 v[86:87], v[86:87], v[100:101]
	;; [unrolled: 3-line block ×4, first 2 shown]
	s_delay_alu instid0(VALU_DEP_2) | instskip(SKIP_1) | instid1(VALU_DEP_1)
	v_add_f64_e32 v[80:81], v[80:81], v[88:89]
	v_mul_u32_u24_e32 v84, 0x63, v215
	v_add_nc_u32_e32 v84, v84, v214
	s_delay_alu instid0(VALU_DEP_1) | instskip(SKIP_2) | instid1(VALU_DEP_2)
	v_lshl_add_u32 v84, v84, 4, v213
	v_add_f64_e32 v[82:83], v[82:83], v[94:95]
	v_add_f64_e32 v[80:81], v[80:81], v[92:93]
	;; [unrolled: 1-line block ×3, first 2 shown]
	s_delay_alu instid0(VALU_DEP_2) | instskip(NEXT) | instid1(VALU_DEP_2)
	v_add_f64_e32 v[80:81], v[80:81], v[104:105]
	v_add_f64_e32 v[82:83], v[82:83], v[98:99]
	s_delay_alu instid0(VALU_DEP_2)
	v_add_f64_e32 v[80:81], v[80:81], v[96:97]
	ds_store_b128 v84, v[173:176] offset:288
	ds_store_b128 v84, v[179:182] offset:432
	;; [unrolled: 1-line block ×9, first 2 shown]
	ds_store_b128 v84, v[80:83]
	ds_store_b128 v84, v[120:123] offset:1440
.LBB0_5:
	s_or_b32 exec_lo, exec_lo, s33
	v_add_co_u32 v100, null, 0xc6, v211
	v_lshlrev_b32_e32 v173, 5, v211
	global_wb scope:SCOPE_SE
	s_wait_dscnt 0x0
	s_barrier_signal -1
	v_and_b32_e32 v76, 0xffff, v100
	s_barrier_wait -1
	global_inv scope:SCOPE_SE
	s_mov_b32 s3, 0x3febb67a
	s_mov_b32 s13, 0xbfebb67a
	v_mul_u32_u24_e32 v76, 0xa57f, v76
	s_add_nc_u64 s[8:9], s[8:9], 0x37b0
	s_mov_b32 s14, 0xa2cf5039
	s_mov_b32 s15, 0x3fe8836f
	s_delay_alu instid0(VALU_DEP_1) | instskip(NEXT) | instid1(VALU_DEP_1)
	v_lshrrev_b32_e32 v76, 22, v76
	v_mul_lo_u16 v76, 0x63, v76
	s_delay_alu instid0(VALU_DEP_1) | instskip(NEXT) | instid1(VALU_DEP_1)
	v_sub_nc_u16 v115, v100, v76
	v_lshlrev_b16 v76, 5, v115
	s_delay_alu instid0(VALU_DEP_1)
	v_and_b32_e32 v84, 0xffff, v76
	s_clause 0x1
	global_load_b128 v[80:83], v173, s[10:11] offset:1440
	global_load_b128 v[76:79], v173, s[10:11] offset:1456
	v_add_co_u32 v84, s2, s10, v84
	s_wait_alu 0xf1ff
	v_add_co_ci_u32_e64 v85, null, s11, 0, s2
	s_mov_b32 s2, 0xe8584caa
	s_clause 0x1
	global_load_b128 v[88:91], v[84:85], off offset:1440
	global_load_b128 v[84:87], v[84:85], off offset:1456
	ds_load_b128 v[92:95], v212 offset:4752
	ds_load_b128 v[96:99], v212 offset:9504
	;; [unrolled: 1-line block ×7, first 2 shown]
	s_wait_alu 0xfffe
	s_mov_b32 s12, s2
	s_wait_loadcnt_dscnt 0x306
	v_mul_f64_e32 v[113:114], v[94:95], v[82:83]
	s_wait_loadcnt_dscnt 0x205
	v_mul_f64_e32 v[134:135], v[98:99], v[78:79]
	v_mul_f64_e32 v[136:137], v[92:93], v[82:83]
	;; [unrolled: 1-line block ×3, first 2 shown]
	s_wait_dscnt 0x4
	v_mul_f64_e32 v[140:141], v[103:104], v[82:83]
	s_wait_dscnt 0x3
	v_mul_f64_e32 v[142:143], v[107:108], v[78:79]
	v_mul_f64_e32 v[144:145], v[101:102], v[82:83]
	;; [unrolled: 1-line block ×3, first 2 shown]
	s_wait_loadcnt_dscnt 0x102
	v_mul_f64_e32 v[148:149], v[111:112], v[90:91]
	s_wait_loadcnt_dscnt 0x1
	v_mul_f64_e32 v[150:151], v[128:129], v[86:87]
	v_mul_f64_e32 v[152:153], v[109:110], v[90:91]
	;; [unrolled: 1-line block ×3, first 2 shown]
	v_fma_f64 v[113:114], v[92:93], v[80:81], -v[113:114]
	v_fma_f64 v[134:135], v[96:97], v[76:77], -v[134:135]
	v_fma_f64 v[136:137], v[94:95], v[80:81], v[136:137]
	v_fma_f64 v[138:139], v[98:99], v[76:77], v[138:139]
	v_fma_f64 v[101:102], v[101:102], v[80:81], -v[140:141]
	v_fma_f64 v[105:106], v[105:106], v[76:77], -v[142:143]
	v_fma_f64 v[103:104], v[103:104], v[80:81], v[144:145]
	v_fma_f64 v[107:108], v[107:108], v[76:77], v[146:147]
	ds_load_b128 v[92:95], v212
	ds_load_b128 v[96:99], v212 offset:1584
	global_wb scope:SCOPE_SE
	s_wait_dscnt 0x0
	s_barrier_signal -1
	v_fma_f64 v[109:110], v[109:110], v[88:89], -v[148:149]
	v_fma_f64 v[140:141], v[126:127], v[84:85], -v[150:151]
	v_fma_f64 v[111:112], v[111:112], v[88:89], v[152:153]
	v_fma_f64 v[142:143], v[128:129], v[84:85], v[154:155]
	s_barrier_wait -1
	global_inv scope:SCOPE_SE
	v_add_f64_e32 v[152:153], v[92:93], v[113:114]
	v_add_f64_e32 v[126:127], v[113:114], v[134:135]
	v_add_f64_e64 v[113:114], v[113:114], -v[134:135]
	v_add_f64_e32 v[128:129], v[136:137], v[138:139]
	v_add_f64_e64 v[154:155], v[136:137], -v[138:139]
	v_add_f64_e32 v[144:145], v[101:102], v[105:106]
	v_add_f64_e32 v[136:137], v[94:95], v[136:137]
	;; [unrolled: 1-line block ×5, first 2 shown]
	v_add_f64_e64 v[161:162], v[103:104], -v[107:108]
	v_add_f64_e64 v[163:164], v[101:102], -v[105:106]
	v_add_f64_e32 v[148:149], v[109:110], v[140:141]
	v_add_f64_e32 v[165:166], v[130:131], v[109:110]
	;; [unrolled: 1-line block ×4, first 2 shown]
	v_add_f64_e64 v[167:168], v[111:112], -v[142:143]
	v_add_f64_e64 v[171:172], v[109:110], -v[140:141]
	v_fma_f64 v[126:127], v[126:127], -0.5, v[92:93]
	v_add_f64_e32 v[92:93], v[152:153], v[134:135]
	v_fma_f64 v[128:129], v[128:129], -0.5, v[94:95]
	v_fma_f64 v[144:145], v[144:145], -0.5, v[96:97]
	v_add_f64_e32 v[94:95], v[136:137], v[138:139]
	v_fma_f64 v[146:147], v[146:147], -0.5, v[98:99]
	v_add_f64_e32 v[96:97], v[156:157], v[105:106]
	v_add_f64_e32 v[98:99], v[158:159], v[107:108]
	v_fma_f64 v[148:149], v[148:149], -0.5, v[130:131]
	v_add_f64_e32 v[130:131], v[165:166], v[140:141]
	v_fma_f64 v[150:151], v[150:151], -0.5, v[132:133]
	v_add_f64_e32 v[132:133], v[169:170], v[142:143]
	v_fma_f64 v[101:102], v[154:155], s[2:3], v[126:127]
	s_wait_alu 0xfffe
	v_fma_f64 v[105:106], v[154:155], s[12:13], v[126:127]
	v_fma_f64 v[103:104], v[113:114], s[12:13], v[128:129]
	;; [unrolled: 1-line block ×7, first 2 shown]
	v_and_b32_e32 v113, 0xffff, v115
	v_add_nc_u32_e32 v114, 0xc60, v173
	v_lshl_add_u32 v163, v211, 4, v213
	v_fma_f64 v[134:135], v[167:168], s[2:3], v[148:149]
	v_fma_f64 v[138:139], v[167:168], s[12:13], v[148:149]
	;; [unrolled: 1-line block ×4, first 2 shown]
	v_lshl_add_u32 v164, v113, 4, v213
	ds_store_b128 v212, v[92:95]
	ds_store_b128 v212, v[101:104] offset:1584
	ds_store_b128 v212, v[105:108] offset:3168
	;; [unrolled: 1-line block ×8, first 2 shown]
	global_wb scope:SCOPE_SE
	s_wait_dscnt 0x0
	s_barrier_signal -1
	s_barrier_wait -1
	global_inv scope:SCOPE_SE
	s_clause 0x1
	global_load_b128 v[96:99], v173, s[10:11] offset:4608
	global_load_b128 v[92:95], v173, s[10:11] offset:4624
	v_lshlrev_b32_e32 v108, 5, v100
	s_clause 0x3
	global_load_b128 v[104:107], v114, s[10:11] offset:4608
	global_load_b128 v[100:103], v114, s[10:11] offset:4624
	global_load_b128 v[112:115], v108, s[10:11] offset:4608
	global_load_b128 v[108:111], v108, s[10:11] offset:4624
	ds_load_b128 v[126:129], v212 offset:4752
	ds_load_b128 v[130:133], v212 offset:9504
	ds_load_b128 v[134:137], v212 offset:6336
	ds_load_b128 v[138:141], v212 offset:11088
	ds_load_b128 v[142:145], v212 offset:7920
	ds_load_b128 v[146:149], v212 offset:12672
	ds_load_b128 v[150:153], v212 offset:3168
	s_mov_b32 s11, 0x3fe491b7
	s_mov_b32 s10, 0x523c161c
	s_wait_loadcnt_dscnt 0x506
	v_mul_f64_e32 v[154:155], v[128:129], v[98:99]
	s_wait_loadcnt_dscnt 0x405
	v_mul_f64_e32 v[156:157], v[132:133], v[94:95]
	v_mul_f64_e32 v[158:159], v[126:127], v[98:99]
	v_mul_f64_e32 v[161:162], v[130:131], v[94:95]
	s_wait_loadcnt_dscnt 0x304
	v_mul_f64_e32 v[165:166], v[136:137], v[106:107]
	s_wait_loadcnt_dscnt 0x203
	v_mul_f64_e32 v[167:168], v[140:141], v[102:103]
	v_mul_f64_e32 v[169:170], v[134:135], v[106:107]
	v_mul_f64_e32 v[171:172], v[138:139], v[102:103]
	;; [unrolled: 6-line block ×3, first 2 shown]
	v_fma_f64 v[154:155], v[126:127], v[96:97], -v[154:155]
	v_fma_f64 v[156:157], v[130:131], v[92:93], -v[156:157]
	v_fma_f64 v[158:159], v[128:129], v[96:97], v[158:159]
	v_fma_f64 v[161:162], v[132:133], v[92:93], v[161:162]
	v_fma_f64 v[134:135], v[134:135], v[104:105], -v[165:166]
	v_fma_f64 v[138:139], v[138:139], v[100:101], -v[167:168]
	v_fma_f64 v[136:137], v[136:137], v[104:105], v[169:170]
	v_fma_f64 v[140:141], v[140:141], v[100:101], v[171:172]
	v_fma_f64 v[142:143], v[142:143], v[112:113], -v[173:174]
	v_fma_f64 v[146:147], v[146:147], v[108:109], -v[175:176]
	v_fma_f64 v[144:145], v[144:145], v[112:113], v[177:178]
	v_fma_f64 v[148:149], v[148:149], v[108:109], v[179:180]
	ds_load_b128 v[126:129], v212
	ds_load_b128 v[130:133], v212 offset:1584
	s_wait_dscnt 0x1
	v_add_f64_e32 v[177:178], v[126:127], v[154:155]
	v_add_f64_e32 v[165:166], v[154:155], v[156:157]
	v_add_f64_e64 v[154:155], v[154:155], -v[156:157]
	v_add_f64_e32 v[167:168], v[158:159], v[161:162]
	v_add_f64_e64 v[179:180], v[158:159], -v[161:162]
	v_add_f64_e32 v[169:170], v[134:135], v[138:139]
	v_add_f64_e32 v[158:159], v[128:129], v[158:159]
	;; [unrolled: 1-line block ×3, first 2 shown]
	s_wait_dscnt 0x0
	v_add_f64_e32 v[181:182], v[130:131], v[134:135]
	v_add_f64_e32 v[173:174], v[142:143], v[146:147]
	;; [unrolled: 1-line block ×6, first 2 shown]
	v_add_f64_e64 v[189:190], v[136:137], -v[140:141]
	v_add_f64_e64 v[191:192], v[134:135], -v[138:139]
	;; [unrolled: 1-line block ×4, first 2 shown]
	v_fma_f64 v[165:166], v[165:166], -0.5, v[126:127]
	v_add_f64_e32 v[126:127], v[177:178], v[156:157]
	v_fma_f64 v[167:168], v[167:168], -0.5, v[128:129]
	v_fma_f64 v[169:170], v[169:170], -0.5, v[130:131]
	v_add_f64_e32 v[128:129], v[158:159], v[161:162]
	v_fma_f64 v[171:172], v[171:172], -0.5, v[132:133]
	v_add_f64_e32 v[130:131], v[181:182], v[138:139]
	;; [unrolled: 2-line block ×4, first 2 shown]
	v_add_f64_e32 v[136:137], v[187:188], v[148:149]
	v_fma_f64 v[138:139], v[179:180], s[2:3], v[165:166]
	v_fma_f64 v[142:143], v[179:180], s[12:13], v[165:166]
	;; [unrolled: 1-line block ×12, first 2 shown]
	s_mov_b32 s2, 0xe8584cab
	ds_store_b128 v212, v[126:129]
	ds_store_b128 v212, v[130:133] offset:1584
	ds_store_b128 v212, v[138:141] offset:4752
	;; [unrolled: 1-line block ×8, first 2 shown]
	global_wb scope:SCOPE_SE
	s_wait_dscnt 0x0
	s_barrier_signal -1
	s_barrier_wait -1
	global_inv scope:SCOPE_SE
	s_clause 0x8
	global_load_b128 v[124:127], v[124:125], off offset:14256
	global_load_b128 v[128:131], v216, s[8:9] offset:1584
	global_load_b128 v[132:135], v216, s[8:9] offset:3168
	;; [unrolled: 1-line block ×8, first 2 shown]
	ds_load_b128 v[165:168], v212
	ds_load_b128 v[169:172], v212 offset:1584
	ds_load_b128 v[173:176], v212 offset:3168
	;; [unrolled: 1-line block ×8, first 2 shown]
	s_mov_b32 s8, 0x8c811c17
	s_mov_b32 s9, 0x3fef838b
	s_wait_alu 0xfffe
	s_mov_b32 s12, s2
	s_wait_loadcnt_dscnt 0x808
	v_mul_f64_e32 v[161:162], v[167:168], v[126:127]
	v_mul_f64_e32 v[126:127], v[165:166], v[126:127]
	s_wait_loadcnt_dscnt 0x707
	v_mul_f64_e32 v[201:202], v[171:172], v[130:131]
	v_mul_f64_e32 v[130:131], v[169:170], v[130:131]
	;; [unrolled: 3-line block ×9, first 2 shown]
	v_fma_f64 v[165:166], v[165:166], v[124:125], -v[161:162]
	v_fma_f64 v[167:168], v[167:168], v[124:125], v[126:127]
	v_fma_f64 v[124:125], v[169:170], v[128:129], -v[201:202]
	v_fma_f64 v[126:127], v[171:172], v[128:129], v[130:131]
	;; [unrolled: 2-line block ×9, first 2 shown]
	ds_store_b128 v212, v[165:168]
	ds_store_b128 v212, v[124:127] offset:1584
	ds_store_b128 v212, v[128:131] offset:3168
	;; [unrolled: 1-line block ×8, first 2 shown]
	global_wb scope:SCOPE_SE
	s_wait_dscnt 0x0
	s_barrier_signal -1
	s_barrier_wait -1
	global_inv scope:SCOPE_SE
	ds_load_b128 v[124:127], v212 offset:1584
	ds_load_b128 v[128:131], v212 offset:12672
	;; [unrolled: 1-line block ×6, first 2 shown]
	ds_load_b128 v[148:151], v212
	s_wait_dscnt 0x5
	v_add_f64_e64 v[152:153], v[124:125], -v[128:129]
	v_add_f64_e64 v[154:155], v[126:127], -v[130:131]
	v_add_f64_e32 v[156:157], v[124:125], v[128:129]
	v_add_f64_e32 v[158:159], v[126:127], v[130:131]
	s_wait_dscnt 0x3
	v_add_f64_e32 v[161:162], v[132:133], v[136:137]
	v_add_f64_e64 v[165:166], v[132:133], -v[136:137]
	v_add_f64_e64 v[167:168], v[134:135], -v[138:139]
	s_wait_dscnt 0x1
	v_add_f64_e32 v[169:170], v[144:145], v[140:141]
	v_add_f64_e32 v[171:172], v[146:147], v[142:143]
	;; [unrolled: 1-line block ×3, first 2 shown]
	ds_load_b128 v[124:127], v212 offset:4752
	v_add_f64_e64 v[140:141], v[144:145], -v[140:141]
	v_add_f64_e64 v[142:143], v[146:147], -v[142:143]
	ds_load_b128 v[128:131], v212 offset:9504
	global_wb scope:SCOPE_SE
	s_wait_dscnt 0x0
	s_barrier_signal -1
	s_barrier_wait -1
	global_inv scope:SCOPE_SE
	v_add_f64_e32 v[195:196], v[124:125], v[128:129]
	v_add_f64_e32 v[197:198], v[126:127], v[130:131]
	v_add_f64_e64 v[124:125], v[124:125], -v[128:129]
	v_add_f64_e64 v[126:127], v[126:127], -v[130:131]
	v_mul_f64_e32 v[144:145], s[10:11], v[152:153]
	v_mul_f64_e32 v[146:147], s[10:11], v[154:155]
	s_mov_b32 s11, 0xbfe491b7
	v_fma_f64 v[175:176], v[156:157], s[14:15], v[148:149]
	v_fma_f64 v[177:178], v[158:159], s[14:15], v[150:151]
	;; [unrolled: 1-line block ×3, first 2 shown]
	v_mul_f64_e32 v[181:182], s[8:9], v[165:166]
	v_mul_f64_e32 v[183:184], s[8:9], v[167:168]
	v_fma_f64 v[185:186], v[169:170], s[14:15], v[148:149]
	v_fma_f64 v[187:188], v[171:172], s[14:15], v[150:151]
	;; [unrolled: 1-line block ×3, first 2 shown]
	s_wait_alu 0xfffe
	v_mul_f64_e32 v[191:192], s[10:11], v[167:168]
	v_mul_f64_e32 v[193:194], s[10:11], v[165:166]
	s_mov_b32 s14, 0x7e0b738b
	s_mov_b32 s15, 0x3fc63a1a
	v_add_f64_e32 v[199:200], v[169:170], v[156:157]
	v_add_f64_e32 v[201:202], v[171:172], v[158:159]
	;; [unrolled: 1-line block ×4, first 2 shown]
	v_fma_f64 v[128:129], v[140:141], s[8:9], v[144:145]
	v_fma_f64 v[130:131], v[142:143], s[8:9], v[146:147]
	s_wait_alu 0xfffe
	v_fma_f64 v[144:145], v[169:170], s[14:15], v[175:176]
	v_fma_f64 v[146:147], v[171:172], s[14:15], v[177:178]
	;; [unrolled: 1-line block ×3, first 2 shown]
	v_fma_f64 v[177:178], v[140:141], s[10:11], -v[181:182]
	v_fma_f64 v[179:180], v[142:143], s[10:11], -v[183:184]
	v_fma_f64 v[181:182], v[161:162], s[14:15], v[185:186]
	v_fma_f64 v[183:184], v[173:174], s[14:15], v[187:188]
	;; [unrolled: 1-line block ×5, first 2 shown]
	v_add_f64_e32 v[191:192], v[165:166], v[152:153]
	v_add_f64_e32 v[193:194], v[167:168], v[154:155]
	;; [unrolled: 1-line block ×6, first 2 shown]
	s_mov_b32 s8, 0x748a0bf8
	s_mov_b32 s10, 0x42522d1b
	;; [unrolled: 1-line block ×4, first 2 shown]
	v_fma_f64 v[128:129], v[124:125], s[2:3], v[128:129]
	v_fma_f64 v[130:131], v[126:127], s[2:3], v[130:131]
	v_fma_f64 v[144:145], v[195:196], -0.5, v[144:145]
	v_fma_f64 v[146:147], v[197:198], -0.5, v[146:147]
	;; [unrolled: 1-line block ×3, first 2 shown]
	v_fma_f64 v[177:178], v[124:125], s[2:3], v[177:178]
	v_fma_f64 v[179:180], v[126:127], s[2:3], v[179:180]
	v_fma_f64 v[181:182], v[195:196], -0.5, v[181:182]
	v_fma_f64 v[183:184], v[197:198], -0.5, v[183:184]
	;; [unrolled: 1-line block ×3, first 2 shown]
	v_fma_f64 v[126:127], v[126:127], s[12:13], v[187:188]
	v_fma_f64 v[124:125], v[124:125], s[12:13], v[189:190]
	v_add_f64_e64 v[187:188], v[191:192], -v[140:141]
	v_add_f64_e64 v[189:190], v[193:194], -v[142:143]
	v_fma_f64 v[191:192], v[207:208], -0.5, v[203:204]
	v_fma_f64 v[193:194], v[209:210], -0.5, v[205:206]
	v_add_f64_e32 v[132:133], v[132:133], v[199:200]
	v_add_f64_e32 v[134:135], v[134:135], v[201:202]
	s_wait_alu 0xfffe
	v_fma_f64 v[165:166], v[165:166], s[8:9], v[128:129]
	v_fma_f64 v[167:168], v[167:168], s[8:9], v[130:131]
	;; [unrolled: 1-line block ×12, first 2 shown]
	v_mul_f64_e32 v[171:172], s[2:3], v[187:188]
	v_mul_f64_e32 v[173:174], s[2:3], v[189:190]
	v_add_f64_e32 v[124:125], v[136:137], v[132:133]
	v_add_f64_e32 v[126:127], v[138:139], v[134:135]
	v_fma_f64 v[132:133], v[189:190], s[12:13], v[191:192]
	v_fma_f64 v[134:135], v[187:188], s[2:3], v[193:194]
	v_add_f64_e64 v[136:137], v[128:129], -v[167:168]
	v_add_f64_e32 v[138:139], v[165:166], v[130:131]
	v_add_f64_e64 v[140:141], v[152:153], -v[154:155]
	v_add_f64_e32 v[142:143], v[146:147], v[156:157]
	;; [unrolled: 2-line block ×3, first 2 shown]
	v_add_f64_e32 v[124:125], v[148:149], v[124:125]
	v_add_f64_e32 v[126:127], v[150:151], v[126:127]
	v_fma_f64 v[148:149], v[173:174], 2.0, v[132:133]
	v_fma_f64 v[150:151], v[171:172], -2.0, v[134:135]
	v_fma_f64 v[152:153], v[167:168], 2.0, v[136:137]
	v_fma_f64 v[144:145], v[154:155], 2.0, v[140:141]
	v_fma_f64 v[146:147], v[146:147], -2.0, v[142:143]
	v_fma_f64 v[154:155], v[165:166], -2.0, v[138:139]
	v_fma_f64 v[156:157], v[161:162], 2.0, v[128:129]
	v_fma_f64 v[158:159], v[169:170], -2.0, v[130:131]
	ds_store_b128 v217, v[124:127]
	ds_store_b128 v217, v[136:139] offset:16
	ds_store_b128 v217, v[128:131] offset:32
	;; [unrolled: 1-line block ×8, first 2 shown]
	global_wb scope:SCOPE_SE
	s_wait_dscnt 0x0
	s_barrier_signal -1
	s_barrier_wait -1
	global_inv scope:SCOPE_SE
	s_and_saveexec_b32 s2, vcc_lo
	s_cbranch_execz .LBB0_7
; %bb.6:
	ds_load_b128 v[124:127], v212
	ds_load_b128 v[136:139], v212 offset:1296
	ds_load_b128 v[128:131], v212 offset:2592
	;; [unrolled: 1-line block ×10, first 2 shown]
.LBB0_7:
	s_wait_alu 0xfffe
	s_or_b32 exec_lo, exec_lo, s2
	v_add_nc_u32_e32 v165, 0xc60, v212
	global_wb scope:SCOPE_SE
	s_wait_dscnt 0x0
	s_barrier_signal -1
	s_barrier_wait -1
	global_inv scope:SCOPE_SE
	s_and_saveexec_b32 s30, vcc_lo
	s_cbranch_execz .LBB0_9
; %bb.8:
	v_mul_f64_e32 v[161:162], v[38:39], v[136:137]
	v_mul_f64_e32 v[38:39], v[38:39], v[138:139]
	s_mov_b32 s25, 0x3fed1bb4
	s_mov_b32 s24, 0x8eee2c13
	;; [unrolled: 1-line block ×11, first 2 shown]
	s_wait_alu 0xfffe
	s_mov_b32 s26, s16
	s_mov_b32 s2, 0x640f44db
	;; [unrolled: 1-line block ×15, first 2 shown]
	s_delay_alu instid0(VALU_DEP_2) | instskip(NEXT) | instid1(VALU_DEP_2)
	v_fma_f64 v[161:162], v[36:37], v[138:139], -v[161:162]
	v_fma_f64 v[136:137], v[36:37], v[136:137], v[38:39]
	v_mul_f64_e32 v[36:37], v[74:75], v[146:147]
	v_mul_f64_e32 v[38:39], v[74:75], v[144:145]
	s_delay_alu instid0(VALU_DEP_2) | instskip(NEXT) | instid1(VALU_DEP_2)
	v_fma_f64 v[36:37], v[72:73], v[144:145], v[36:37]
	v_fma_f64 v[72:73], v[72:73], v[146:147], -v[38:39]
	v_mul_f64_e32 v[38:39], v[70:71], v[150:151]
	v_mul_f64_e32 v[70:71], v[70:71], v[148:149]
	s_delay_alu instid0(VALU_DEP_2) | instskip(NEXT) | instid1(VALU_DEP_2)
	v_fma_f64 v[38:39], v[68:69], v[148:149], v[38:39]
	v_fma_f64 v[68:69], v[68:69], v[150:151], -v[70:71]
	v_mul_f64_e32 v[70:71], v[66:67], v[142:143]
	v_mul_f64_e32 v[66:67], v[66:67], v[140:141]
	s_delay_alu instid0(VALU_DEP_4) | instskip(NEXT) | instid1(VALU_DEP_4)
	v_add_f64_e64 v[144:145], v[36:37], -v[38:39]
	v_add_f64_e64 v[146:147], v[72:73], -v[68:69]
	s_delay_alu instid0(VALU_DEP_4) | instskip(NEXT) | instid1(VALU_DEP_4)
	v_fma_f64 v[70:71], v[64:65], v[140:141], v[70:71]
	v_fma_f64 v[66:67], v[64:65], v[142:143], -v[66:67]
	v_mul_f64_e32 v[64:65], v[62:63], v[158:159]
	v_mul_f64_e32 v[62:63], v[62:63], v[156:157]
	v_add_f64_e32 v[216:217], v[72:73], v[68:69]
	v_add_f64_e32 v[220:221], v[36:37], v[38:39]
	v_mul_f64_e32 v[218:219], s[20:21], v[144:145]
	v_mul_f64_e32 v[222:223], s[20:21], v[146:147]
	v_fma_f64 v[64:65], v[60:61], v[156:157], v[64:65]
	v_fma_f64 v[60:61], v[60:61], v[158:159], -v[62:63]
	v_mul_f64_e32 v[62:63], v[58:59], v[134:135]
	v_mul_f64_e32 v[58:59], v[58:59], v[132:133]
	s_delay_alu instid0(VALU_DEP_2) | instskip(NEXT) | instid1(VALU_DEP_2)
	v_fma_f64 v[62:63], v[56:57], v[132:133], v[62:63]
	v_fma_f64 v[58:59], v[56:57], v[134:135], -v[58:59]
	v_mul_f64_e32 v[56:57], v[54:55], v[154:155]
	v_mul_f64_e32 v[54:55], v[54:55], v[152:153]
	s_delay_alu instid0(VALU_DEP_2) | instskip(NEXT) | instid1(VALU_DEP_2)
	v_fma_f64 v[56:57], v[52:53], v[152:153], v[56:57]
	v_fma_f64 v[52:53], v[52:53], v[154:155], -v[54:55]
	v_mul_f64_e32 v[54:55], v[46:47], v[130:131]
	v_mul_f64_e32 v[46:47], v[46:47], v[128:129]
	s_delay_alu instid0(VALU_DEP_4) | instskip(NEXT) | instid1(VALU_DEP_4)
	v_add_f64_e64 v[148:149], v[62:63], -v[56:57]
	v_add_f64_e64 v[150:151], v[58:59], -v[52:53]
	s_delay_alu instid0(VALU_DEP_4) | instskip(NEXT) | instid1(VALU_DEP_4)
	v_fma_f64 v[54:55], v[44:45], v[128:129], v[54:55]
	v_fma_f64 v[74:75], v[44:45], v[130:131], -v[46:47]
	v_mul_f64_e32 v[44:45], v[50:51], v[118:119]
	v_mul_f64_e32 v[46:47], v[50:51], v[116:117]
	v_add_f64_e64 v[50:51], v[66:67], -v[60:61]
	v_mul_f64_e32 v[128:129], s[24:25], v[144:145]
	v_mul_f64_e32 v[130:131], s[24:25], v[146:147]
	v_add_f64_e32 v[202:203], v[62:63], v[56:57]
	v_mul_f64_e32 v[138:139], s[24:25], v[148:149]
	v_mul_f64_e32 v[140:141], s[24:25], v[150:151]
	v_fma_f64 v[44:45], v[48:49], v[116:117], v[44:45]
	v_fma_f64 v[48:49], v[48:49], v[118:119], -v[46:47]
	v_mul_f64_e32 v[46:47], v[42:43], v[122:123]
	v_mul_f64_e32 v[42:43], v[42:43], v[120:121]
	s_delay_alu instid0(VALU_DEP_4) | instskip(NEXT) | instid1(VALU_DEP_4)
	v_add_f64_e64 v[194:195], v[54:55], -v[44:45]
	v_add_f64_e64 v[198:199], v[74:75], -v[48:49]
	s_delay_alu instid0(VALU_DEP_4) | instskip(NEXT) | instid1(VALU_DEP_4)
	v_fma_f64 v[46:47], v[40:41], v[120:121], v[46:47]
	v_fma_f64 v[40:41], v[40:41], v[122:123], -v[42:43]
	v_add_f64_e64 v[42:43], v[70:71], -v[64:65]
	v_mul_f64_e32 v[122:123], s[24:25], v[50:51]
	v_add_f64_e32 v[200:201], v[54:55], v[44:45]
	v_add_f64_e32 v[196:197], v[74:75], v[48:49]
	v_add_f64_e64 v[116:117], v[136:137], -v[46:47]
	v_add_f64_e32 v[152:153], v[161:162], v[40:41]
	v_mul_f64_e32 v[120:121], s[24:25], v[42:43]
	s_mov_b32 s25, 0xbfed1bb4
	v_add_f64_e32 v[178:179], v[136:137], v[46:47]
	s_delay_alu instid0(VALU_DEP_4)
	v_mul_f64_e32 v[118:119], s[22:23], v[116:117]
	v_mul_f64_e32 v[132:133], s[18:19], v[116:117]
	;; [unrolled: 1-line block ×3, first 2 shown]
	s_wait_alu 0xfffe
	v_mul_f64_e32 v[142:143], s[26:27], v[116:117]
	v_mul_f64_e32 v[116:117], s[24:25], v[116:117]
	v_fma_f64 v[154:155], v[152:153], s[12:13], v[118:119]
	v_fma_f64 v[118:119], v[152:153], s[12:13], -v[118:119]
	v_fma_f64 v[156:157], v[152:153], s[10:11], v[132:133]
	v_fma_f64 v[132:133], v[152:153], s[10:11], -v[132:133]
	;; [unrolled: 2-line block ×4, first 2 shown]
	v_fma_f64 v[168:169], v[152:153], s[8:9], -v[116:117]
	v_fma_f64 v[116:117], v[152:153], s[8:9], v[116:117]
	v_add_f64_e64 v[152:153], v[161:162], -v[40:41]
	v_add_f64_e32 v[161:162], v[126:127], v[161:162]
	v_add_f64_e32 v[156:157], v[126:127], v[156:157]
	;; [unrolled: 1-line block ×9, first 2 shown]
	v_mul_f64_e32 v[170:171], s[22:23], v[152:153]
	v_mul_f64_e32 v[172:173], s[18:19], v[152:153]
	;; [unrolled: 1-line block ×6, first 2 shown]
	v_fma_f64 v[180:181], v[178:179], s[12:13], -v[170:171]
	v_fma_f64 v[170:171], v[178:179], s[12:13], v[170:171]
	v_fma_f64 v[182:183], v[178:179], s[10:11], -v[172:173]
	v_fma_f64 v[172:173], v[178:179], s[10:11], v[172:173]
	;; [unrolled: 2-line block ×3, first 2 shown]
	v_fma_f64 v[186:187], v[178:179], s[14:15], v[176:177]
	v_fma_f64 v[176:177], v[178:179], s[14:15], -v[176:177]
	v_fma_f64 v[188:189], v[178:179], s[8:9], v[152:153]
	v_fma_f64 v[152:153], v[178:179], s[8:9], -v[152:153]
	v_add_f64_e32 v[178:179], v[124:125], v[136:137]
	v_add_f64_e32 v[136:137], v[126:127], v[154:155]
	;; [unrolled: 1-line block ×4, first 2 shown]
	v_mul_f64_e32 v[126:127], s[16:17], v[198:199]
	v_add_f64_e32 v[170:171], v[124:125], v[170:171]
	v_add_f64_e32 v[182:183], v[124:125], v[182:183]
	;; [unrolled: 1-line block ×9, first 2 shown]
	v_mul_f64_e32 v[124:125], s[16:17], v[194:195]
	v_fma_f64 v[118:119], v[200:201], s[14:15], -v[126:127]
	v_fma_f64 v[126:127], v[200:201], s[14:15], v[126:127]
	s_delay_alu instid0(VALU_DEP_3) | instskip(SKIP_1) | instid1(VALU_DEP_4)
	v_fma_f64 v[116:117], v[196:197], s[14:15], v[124:125]
	v_fma_f64 v[124:125], v[196:197], s[14:15], -v[124:125]
	v_add_f64_e32 v[118:119], v[118:119], v[154:155]
	v_add_f64_e32 v[154:155], v[58:59], v[52:53]
	;; [unrolled: 1-line block ×5, first 2 shown]
	s_delay_alu instid0(VALU_DEP_4) | instskip(SKIP_1) | instid1(VALU_DEP_2)
	v_fma_f64 v[136:137], v[154:155], s[10:11], v[134:135]
	v_fma_f64 v[134:135], v[154:155], s[10:11], -v[134:135]
	v_add_f64_e32 v[116:117], v[136:137], v[116:117]
	v_mul_f64_e32 v[136:137], s[18:19], v[150:151]
	s_delay_alu instid0(VALU_DEP_3) | instskip(NEXT) | instid1(VALU_DEP_2)
	v_add_f64_e32 v[124:125], v[134:135], v[124:125]
	v_fma_f64 v[204:205], v[202:203], s[10:11], -v[136:137]
	v_fma_f64 v[134:135], v[202:203], s[10:11], v[136:137]
	v_mul_f64_e32 v[136:137], s[28:29], v[198:199]
	s_delay_alu instid0(VALU_DEP_3) | instskip(SKIP_1) | instid1(VALU_DEP_4)
	v_add_f64_e32 v[118:119], v[204:205], v[118:119]
	v_add_f64_e32 v[204:205], v[66:67], v[60:61]
	;; [unrolled: 1-line block ×3, first 2 shown]
	v_mul_f64_e32 v[134:135], s[28:29], v[194:195]
	s_delay_alu instid0(VALU_DEP_3) | instskip(SKIP_1) | instid1(VALU_DEP_2)
	v_fma_f64 v[206:207], v[204:205], s[8:9], v[120:121]
	v_fma_f64 v[120:121], v[204:205], s[8:9], -v[120:121]
	v_add_f64_e32 v[116:117], v[206:207], v[116:117]
	v_add_f64_e32 v[206:207], v[70:71], v[64:65]
	s_delay_alu instid0(VALU_DEP_3) | instskip(NEXT) | instid1(VALU_DEP_2)
	v_add_f64_e32 v[120:121], v[120:121], v[124:125]
	v_fma_f64 v[208:209], v[206:207], s[8:9], -v[122:123]
	v_fma_f64 v[122:123], v[206:207], s[8:9], v[122:123]
	s_delay_alu instid0(VALU_DEP_2) | instskip(NEXT) | instid1(VALU_DEP_2)
	v_add_f64_e32 v[208:209], v[208:209], v[118:119]
	v_add_f64_e32 v[124:125], v[122:123], v[126:127]
	v_fma_f64 v[122:123], v[216:217], s[2:3], -v[218:219]
	v_fma_f64 v[126:127], v[220:221], s[2:3], v[222:223]
	v_fma_f64 v[118:119], v[216:217], s[2:3], v[218:219]
	s_delay_alu instid0(VALU_DEP_3) | instskip(NEXT) | instid1(VALU_DEP_3)
	v_add_f64_e32 v[122:123], v[122:123], v[120:121]
	v_add_f64_e32 v[120:121], v[126:127], v[124:125]
	v_fma_f64 v[124:125], v[196:197], s[2:3], v[134:135]
	v_fma_f64 v[126:127], v[200:201], s[2:3], -v[136:137]
	v_fma_f64 v[134:135], v[196:197], s[2:3], -v[134:135]
	v_add_f64_e32 v[118:119], v[118:119], v[116:117]
	v_fma_f64 v[116:117], v[220:221], s[2:3], -v[222:223]
	v_add_f64_e32 v[124:125], v[124:125], v[156:157]
	v_mul_f64_e32 v[156:157], s[26:27], v[148:149]
	v_add_f64_e32 v[126:127], v[126:127], v[182:183]
	v_add_f64_e32 v[132:133], v[134:135], v[132:133]
	v_fma_f64 v[134:135], v[200:201], s[2:3], v[136:137]
	v_add_f64_e32 v[116:117], v[116:117], v[208:209]
	v_fma_f64 v[170:171], v[154:155], s[14:15], v[156:157]
	v_fma_f64 v[136:137], v[154:155], s[14:15], -v[156:157]
	v_mul_f64_e32 v[156:157], s[34:35], v[198:199]
	v_add_f64_e32 v[134:135], v[134:135], v[172:173]
	s_delay_alu instid0(VALU_DEP_4) | instskip(SKIP_2) | instid1(VALU_DEP_2)
	v_add_f64_e32 v[124:125], v[170:171], v[124:125]
	v_mul_f64_e32 v[170:171], s[26:27], v[150:151]
	v_add_f64_e32 v[132:133], v[136:137], v[132:133]
	v_fma_f64 v[180:181], v[202:203], s[14:15], -v[170:171]
	v_fma_f64 v[136:137], v[202:203], s[14:15], v[170:171]
	s_delay_alu instid0(VALU_DEP_2) | instskip(SKIP_1) | instid1(VALU_DEP_3)
	v_add_f64_e32 v[126:127], v[180:181], v[126:127]
	v_mul_f64_e32 v[180:181], s[22:23], v[42:43]
	v_add_f64_e32 v[134:135], v[136:137], v[134:135]
	s_delay_alu instid0(VALU_DEP_2) | instskip(SKIP_2) | instid1(VALU_DEP_3)
	v_fma_f64 v[182:183], v[204:205], s[12:13], v[180:181]
	v_fma_f64 v[136:137], v[204:205], s[12:13], -v[180:181]
	v_mul_f64_e32 v[180:181], s[18:19], v[144:145]
	v_add_f64_e32 v[124:125], v[182:183], v[124:125]
	v_mul_f64_e32 v[182:183], s[22:23], v[50:51]
	s_delay_alu instid0(VALU_DEP_4) | instskip(NEXT) | instid1(VALU_DEP_2)
	v_add_f64_e32 v[132:133], v[136:137], v[132:133]
	v_fma_f64 v[208:209], v[206:207], s[12:13], -v[182:183]
	v_fma_f64 v[136:137], v[206:207], s[12:13], v[182:183]
	v_mul_f64_e32 v[182:183], s[18:19], v[146:147]
	s_delay_alu instid0(VALU_DEP_3) | instskip(SKIP_1) | instid1(VALU_DEP_4)
	v_add_f64_e32 v[208:209], v[208:209], v[126:127]
	v_fma_f64 v[126:127], v[216:217], s[8:9], v[128:129]
	v_add_f64_e32 v[134:135], v[136:137], v[134:135]
	v_fma_f64 v[128:129], v[216:217], s[8:9], -v[128:129]
	v_fma_f64 v[136:137], v[220:221], s[8:9], v[130:131]
	s_delay_alu instid0(VALU_DEP_4) | instskip(SKIP_1) | instid1(VALU_DEP_4)
	v_add_f64_e32 v[126:127], v[126:127], v[124:125]
	v_fma_f64 v[124:125], v[220:221], s[8:9], -v[130:131]
	v_add_f64_e32 v[130:131], v[128:129], v[132:133]
	s_delay_alu instid0(VALU_DEP_4) | instskip(SKIP_4) | instid1(VALU_DEP_4)
	v_add_f64_e32 v[128:129], v[136:137], v[134:135]
	v_mul_f64_e32 v[136:137], s[34:35], v[194:195]
	v_fma_f64 v[134:135], v[200:201], s[12:13], -v[156:157]
	v_fma_f64 v[156:157], v[200:201], s[12:13], v[156:157]
	v_add_f64_e32 v[124:125], v[124:125], v[208:209]
	v_fma_f64 v[132:133], v[196:197], s[12:13], v[136:137]
	s_delay_alu instid0(VALU_DEP_4)
	v_add_f64_e32 v[134:135], v[134:135], v[184:185]
	v_fma_f64 v[136:137], v[196:197], s[12:13], -v[136:137]
	v_add_f64_e32 v[156:157], v[156:157], v[174:175]
	v_mul_f64_e32 v[184:185], s[22:23], v[144:145]
	v_add_f64_e32 v[132:133], v[132:133], v[158:159]
	v_fma_f64 v[158:159], v[154:155], s[8:9], v[138:139]
	v_add_f64_e32 v[136:137], v[136:137], v[190:191]
	v_fma_f64 v[138:139], v[154:155], s[8:9], -v[138:139]
	s_delay_alu instid0(VALU_DEP_3) | instskip(SKIP_1) | instid1(VALU_DEP_3)
	v_add_f64_e32 v[132:133], v[158:159], v[132:133]
	v_fma_f64 v[158:159], v[202:203], s[8:9], -v[140:141]
	v_add_f64_e32 v[136:137], v[138:139], v[136:137]
	v_fma_f64 v[138:139], v[202:203], s[8:9], v[140:141]
	s_delay_alu instid0(VALU_DEP_3) | instskip(SKIP_1) | instid1(VALU_DEP_3)
	v_add_f64_e32 v[134:135], v[158:159], v[134:135]
	v_mul_f64_e32 v[158:159], s[26:27], v[42:43]
	v_add_f64_e32 v[138:139], v[138:139], v[156:157]
	v_fma_f64 v[156:157], v[220:221], s[10:11], v[182:183]
	s_delay_alu instid0(VALU_DEP_3) | instskip(SKIP_2) | instid1(VALU_DEP_3)
	v_fma_f64 v[170:171], v[204:205], s[14:15], v[158:159]
	v_fma_f64 v[140:141], v[204:205], s[14:15], -v[158:159]
	v_mul_f64_e32 v[158:159], s[24:25], v[198:199]
	v_add_f64_e32 v[132:133], v[170:171], v[132:133]
	v_mul_f64_e32 v[170:171], s[26:27], v[50:51]
	s_delay_alu instid0(VALU_DEP_4) | instskip(NEXT) | instid1(VALU_DEP_2)
	v_add_f64_e32 v[136:137], v[140:141], v[136:137]
	v_fma_f64 v[140:141], v[206:207], s[14:15], v[170:171]
	v_fma_f64 v[172:173], v[206:207], s[14:15], -v[170:171]
	v_mul_f64_e32 v[170:171], s[20:21], v[148:149]
	v_mul_f64_e32 v[148:149], s[34:35], v[148:149]
	s_delay_alu instid0(VALU_DEP_4) | instskip(SKIP_3) | instid1(VALU_DEP_3)
	v_add_f64_e32 v[140:141], v[140:141], v[138:139]
	v_fma_f64 v[138:139], v[216:217], s[10:11], -v[180:181]
	v_add_f64_e32 v[172:173], v[172:173], v[134:135]
	v_fma_f64 v[134:135], v[216:217], s[10:11], v[180:181]
	v_add_f64_e32 v[138:139], v[138:139], v[136:137]
	v_add_f64_e32 v[136:137], v[156:157], v[140:141]
	v_mul_f64_e32 v[156:157], s[24:25], v[194:195]
	s_delay_alu instid0(VALU_DEP_4) | instskip(SKIP_1) | instid1(VALU_DEP_3)
	v_add_f64_e32 v[134:135], v[134:135], v[132:133]
	v_fma_f64 v[132:133], v[220:221], s[10:11], -v[182:183]
	v_fma_f64 v[140:141], v[196:197], s[8:9], -v[156:157]
	s_delay_alu instid0(VALU_DEP_2) | instskip(SKIP_1) | instid1(VALU_DEP_3)
	v_add_f64_e32 v[132:133], v[132:133], v[172:173]
	v_fma_f64 v[172:173], v[154:155], s[2:3], -v[170:171]
	v_add_f64_e32 v[140:141], v[140:141], v[142:143]
	v_fma_f64 v[142:143], v[200:201], s[8:9], v[158:159]
	s_delay_alu instid0(VALU_DEP_2) | instskip(SKIP_1) | instid1(VALU_DEP_3)
	v_add_f64_e32 v[140:141], v[172:173], v[140:141]
	v_mul_f64_e32 v[172:173], s[20:21], v[150:151]
	v_add_f64_e32 v[142:143], v[142:143], v[186:187]
	v_mul_f64_e32 v[186:187], s[22:23], v[146:147]
	v_mul_f64_e32 v[150:151], s[34:35], v[150:151]
	s_delay_alu instid0(VALU_DEP_4) | instskip(NEXT) | instid1(VALU_DEP_1)
	v_fma_f64 v[174:175], v[202:203], s[2:3], v[172:173]
	v_add_f64_e32 v[142:143], v[174:175], v[142:143]
	v_mul_f64_e32 v[174:175], s[18:19], v[42:43]
	v_mul_f64_e32 v[42:43], s[28:29], v[42:43]
	s_delay_alu instid0(VALU_DEP_2) | instskip(NEXT) | instid1(VALU_DEP_1)
	v_fma_f64 v[180:181], v[204:205], s[10:11], -v[174:175]
	v_add_f64_e32 v[140:141], v[180:181], v[140:141]
	v_mul_f64_e32 v[180:181], s[18:19], v[50:51]
	v_mul_f64_e32 v[50:51], s[28:29], v[50:51]
	s_delay_alu instid0(VALU_DEP_2) | instskip(NEXT) | instid1(VALU_DEP_1)
	v_fma_f64 v[182:183], v[206:207], s[10:11], v[180:181]
	v_add_f64_e32 v[182:183], v[182:183], v[142:143]
	v_fma_f64 v[142:143], v[216:217], s[12:13], -v[184:185]
	s_delay_alu instid0(VALU_DEP_1) | instskip(SKIP_1) | instid1(VALU_DEP_1)
	v_add_f64_e32 v[142:143], v[142:143], v[140:141]
	v_fma_f64 v[140:141], v[220:221], s[12:13], v[186:187]
	v_add_f64_e32 v[140:141], v[140:141], v[182:183]
	v_mul_f64_e32 v[182:183], s[18:19], v[194:195]
	s_delay_alu instid0(VALU_DEP_1) | instskip(NEXT) | instid1(VALU_DEP_1)
	v_fma_f64 v[190:191], v[196:197], s[10:11], -v[182:183]
	v_add_f64_e32 v[168:169], v[190:191], v[168:169]
	v_mul_f64_e32 v[190:191], s[18:19], v[198:199]
	v_mul_f64_e32 v[198:199], s[16:17], v[146:147]
	s_delay_alu instid0(VALU_DEP_2) | instskip(NEXT) | instid1(VALU_DEP_1)
	v_fma_f64 v[194:195], v[200:201], s[10:11], v[190:191]
	v_add_f64_e32 v[188:189], v[194:195], v[188:189]
	v_fma_f64 v[194:195], v[154:155], s[12:13], -v[148:149]
	v_fma_f64 v[148:149], v[154:155], s[12:13], v[148:149]
	s_delay_alu instid0(VALU_DEP_2) | instskip(SKIP_2) | instid1(VALU_DEP_2)
	v_add_f64_e32 v[168:169], v[194:195], v[168:169]
	v_fma_f64 v[194:195], v[202:203], s[12:13], v[150:151]
	v_fma_f64 v[150:151], v[202:203], s[12:13], -v[150:151]
	v_add_f64_e32 v[188:189], v[194:195], v[188:189]
	v_fma_f64 v[194:195], v[204:205], s[2:3], -v[42:43]
	v_fma_f64 v[42:43], v[204:205], s[2:3], v[42:43]
	s_delay_alu instid0(VALU_DEP_2) | instskip(SKIP_2) | instid1(VALU_DEP_2)
	v_add_f64_e32 v[168:169], v[194:195], v[168:169]
	v_fma_f64 v[194:195], v[206:207], s[2:3], v[50:51]
	v_fma_f64 v[50:51], v[206:207], s[2:3], -v[50:51]
	v_add_f64_e32 v[188:189], v[194:195], v[188:189]
	v_mul_f64_e32 v[194:195], s[16:17], v[144:145]
	s_delay_alu instid0(VALU_DEP_1) | instskip(NEXT) | instid1(VALU_DEP_1)
	v_fma_f64 v[144:145], v[216:217], s[14:15], -v[194:195]
	v_add_f64_e32 v[146:147], v[144:145], v[168:169]
	v_fma_f64 v[168:169], v[196:197], s[10:11], v[182:183]
	v_fma_f64 v[182:183], v[200:201], s[10:11], -v[190:191]
	v_fma_f64 v[144:145], v[220:221], s[14:15], v[198:199]
	s_delay_alu instid0(VALU_DEP_3) | instskip(NEXT) | instid1(VALU_DEP_3)
	v_add_f64_e32 v[168:169], v[168:169], v[192:193]
	v_add_f64_e32 v[152:153], v[182:183], v[152:153]
	s_delay_alu instid0(VALU_DEP_3) | instskip(NEXT) | instid1(VALU_DEP_3)
	v_add_f64_e32 v[144:145], v[144:145], v[188:189]
	v_add_f64_e32 v[148:149], v[148:149], v[168:169]
	s_delay_alu instid0(VALU_DEP_3) | instskip(SKIP_1) | instid1(VALU_DEP_3)
	v_add_f64_e32 v[150:151], v[150:151], v[152:153]
	v_fma_f64 v[152:153], v[220:221], s[14:15], -v[198:199]
	v_add_f64_e32 v[42:43], v[42:43], v[148:149]
	v_fma_f64 v[148:149], v[216:217], s[14:15], v[194:195]
	s_delay_alu instid0(VALU_DEP_4) | instskip(NEXT) | instid1(VALU_DEP_2)
	v_add_f64_e32 v[50:51], v[50:51], v[150:151]
	v_add_f64_e32 v[150:151], v[148:149], v[42:43]
	;; [unrolled: 1-line block ×3, first 2 shown]
	s_delay_alu instid0(VALU_DEP_3) | instskip(SKIP_1) | instid1(VALU_DEP_3)
	v_add_f64_e32 v[148:149], v[152:153], v[50:51]
	v_add_f64_e32 v[50:51], v[178:179], v[54:55]
	;; [unrolled: 1-line block ×3, first 2 shown]
	s_delay_alu instid0(VALU_DEP_2) | instskip(NEXT) | instid1(VALU_DEP_2)
	v_add_f64_e32 v[50:51], v[50:51], v[62:63]
	v_add_f64_e32 v[42:43], v[42:43], v[66:67]
	s_delay_alu instid0(VALU_DEP_2) | instskip(NEXT) | instid1(VALU_DEP_2)
	v_add_f64_e32 v[50:51], v[50:51], v[70:71]
	v_add_f64_e32 v[42:43], v[42:43], v[72:73]
	s_delay_alu instid0(VALU_DEP_2) | instskip(SKIP_1) | instid1(VALU_DEP_3)
	v_add_f64_e32 v[36:37], v[50:51], v[36:37]
	v_fma_f64 v[50:51], v[206:207], s[10:11], -v[180:181]
	v_add_f64_e32 v[42:43], v[42:43], v[68:69]
	s_delay_alu instid0(VALU_DEP_3) | instskip(NEXT) | instid1(VALU_DEP_2)
	v_add_f64_e32 v[36:37], v[36:37], v[38:39]
	v_add_f64_e32 v[38:39], v[42:43], v[60:61]
	v_fma_f64 v[42:43], v[200:201], s[8:9], -v[158:159]
	s_delay_alu instid0(VALU_DEP_3) | instskip(NEXT) | instid1(VALU_DEP_3)
	v_add_f64_e32 v[36:37], v[36:37], v[64:65]
	v_add_f64_e32 v[38:39], v[38:39], v[52:53]
	s_delay_alu instid0(VALU_DEP_3) | instskip(NEXT) | instid1(VALU_DEP_3)
	v_add_f64_e32 v[42:43], v[42:43], v[176:177]
	v_add_f64_e32 v[36:37], v[36:37], v[56:57]
	s_delay_alu instid0(VALU_DEP_3) | instskip(SKIP_1) | instid1(VALU_DEP_3)
	v_add_f64_e32 v[38:39], v[38:39], v[48:49]
	v_fma_f64 v[48:49], v[204:205], s[10:11], v[174:175]
	v_add_f64_e32 v[36:37], v[36:37], v[44:45]
	v_fma_f64 v[44:45], v[154:155], s[2:3], v[170:171]
	s_delay_alu instid0(VALU_DEP_4) | instskip(SKIP_1) | instid1(VALU_DEP_4)
	v_add_f64_e32 v[38:39], v[38:39], v[40:41]
	v_fma_f64 v[40:41], v[196:197], s[8:9], v[156:157]
	v_add_f64_e32 v[36:37], v[36:37], v[46:47]
	v_fma_f64 v[46:47], v[202:203], s[2:3], -v[172:173]
	s_delay_alu instid0(VALU_DEP_3) | instskip(NEXT) | instid1(VALU_DEP_2)
	v_add_f64_e32 v[40:41], v[40:41], v[166:167]
	v_add_f64_e32 v[42:43], v[46:47], v[42:43]
	v_fma_f64 v[46:47], v[220:221], s[12:13], -v[186:187]
	s_delay_alu instid0(VALU_DEP_3) | instskip(SKIP_1) | instid1(VALU_DEP_2)
	v_add_f64_e32 v[40:41], v[44:45], v[40:41]
	v_fma_f64 v[44:45], v[216:217], s[12:13], v[184:185]
	v_add_f64_e32 v[40:41], v[48:49], v[40:41]
	v_add_f64_e32 v[48:49], v[50:51], v[42:43]
	s_delay_alu instid0(VALU_DEP_2) | instskip(NEXT) | instid1(VALU_DEP_2)
	v_add_f64_e32 v[42:43], v[44:45], v[40:41]
	v_add_f64_e32 v[40:41], v[46:47], v[48:49]
	v_mul_u32_u24_e32 v44, 0x63, v215
	s_delay_alu instid0(VALU_DEP_1) | instskip(NEXT) | instid1(VALU_DEP_1)
	v_add_nc_u32_e32 v44, v44, v214
	v_lshl_add_u32 v44, v44, 4, v213
	ds_store_b128 v44, v[128:131] offset:576
	ds_store_b128 v44, v[120:123] offset:720
	;; [unrolled: 1-line block ×9, first 2 shown]
	ds_store_b128 v44, v[36:39]
	ds_store_b128 v44, v[40:43] offset:1440
.LBB0_9:
	s_wait_alu 0xfffe
	s_or_b32 exec_lo, exec_lo, s30
	global_wb scope:SCOPE_SE
	s_wait_dscnt 0x0
	s_barrier_signal -1
	s_barrier_wait -1
	global_inv scope:SCOPE_SE
	ds_load_b128 v[36:39], v212 offset:4752
	ds_load_b128 v[40:43], v212 offset:9504
	;; [unrolled: 1-line block ×7, first 2 shown]
	s_mov_b32 s2, 0xe8584caa
	s_mov_b32 s3, 0xbfebb67a
	;; [unrolled: 1-line block ×3, first 2 shown]
	s_wait_alu 0xfffe
	s_mov_b32 s8, s2
	s_wait_dscnt 0x6
	v_mul_f64_e32 v[64:65], v[82:83], v[38:39]
	s_wait_dscnt 0x5
	v_mul_f64_e32 v[66:67], v[78:79], v[42:43]
	v_mul_f64_e32 v[68:69], v[82:83], v[36:37]
	v_mul_f64_e32 v[70:71], v[78:79], v[40:41]
	s_wait_dscnt 0x4
	v_mul_f64_e32 v[72:73], v[82:83], v[46:47]
	s_wait_dscnt 0x3
	v_mul_f64_e32 v[74:75], v[78:79], v[50:51]
	v_mul_f64_e32 v[82:83], v[82:83], v[44:45]
	v_mul_f64_e32 v[78:79], v[78:79], v[48:49]
	;; [unrolled: 6-line block ×3, first 2 shown]
	v_fma_f64 v[64:65], v[80:81], v[36:37], v[64:65]
	v_fma_f64 v[66:67], v[76:77], v[40:41], v[66:67]
	v_fma_f64 v[68:69], v[80:81], v[38:39], -v[68:69]
	v_fma_f64 v[70:71], v[76:77], v[42:43], -v[70:71]
	v_fma_f64 v[44:45], v[80:81], v[44:45], v[72:73]
	v_fma_f64 v[48:49], v[76:77], v[48:49], v[74:75]
	v_fma_f64 v[46:47], v[80:81], v[46:47], -v[82:83]
	v_fma_f64 v[50:51], v[76:77], v[50:51], -v[78:79]
	;; [unrolled: 4-line block ×3, first 2 shown]
	ds_load_b128 v[36:39], v212
	ds_load_b128 v[40:43], v212 offset:1584
	global_wb scope:SCOPE_SE
	s_wait_dscnt 0x0
	s_barrier_signal -1
	s_barrier_wait -1
	global_inv scope:SCOPE_SE
	v_add_f64_e32 v[84:85], v[36:37], v[64:65]
	v_add_f64_e32 v[72:73], v[64:65], v[66:67]
	v_add_f64_e64 v[64:65], v[64:65], -v[66:67]
	v_add_f64_e32 v[74:75], v[68:69], v[70:71]
	v_add_f64_e64 v[86:87], v[68:69], -v[70:71]
	v_add_f64_e32 v[76:77], v[44:45], v[48:49]
	v_add_f64_e32 v[68:69], v[38:39], v[68:69]
	;; [unrolled: 1-line block ×9, first 2 shown]
	v_add_f64_e64 v[120:121], v[46:47], -v[50:51]
	v_add_f64_e64 v[122:123], v[44:45], -v[48:49]
	;; [unrolled: 1-line block ×4, first 2 shown]
	v_fma_f64 v[72:73], v[72:73], -0.5, v[36:37]
	v_add_f64_e32 v[36:37], v[84:85], v[66:67]
	v_fma_f64 v[74:75], v[74:75], -0.5, v[38:39]
	v_fma_f64 v[76:77], v[76:77], -0.5, v[40:41]
	v_add_f64_e32 v[38:39], v[68:69], v[70:71]
	v_fma_f64 v[78:79], v[78:79], -0.5, v[42:43]
	v_add_f64_e32 v[40:41], v[88:89], v[48:49]
	;; [unrolled: 2-line block ×4, first 2 shown]
	v_add_f64_e32 v[46:47], v[118:119], v[58:59]
	v_fma_f64 v[48:49], v[86:87], s[2:3], v[72:73]
	s_wait_alu 0xfffe
	v_fma_f64 v[52:53], v[86:87], s[8:9], v[72:73]
	v_fma_f64 v[50:51], v[64:65], s[8:9], v[74:75]
	;; [unrolled: 1-line block ×11, first 2 shown]
	ds_store_b128 v212, v[36:39]
	ds_store_b128 v212, v[48:51] offset:1584
	ds_store_b128 v212, v[52:55] offset:3168
	;; [unrolled: 1-line block ×8, first 2 shown]
	global_wb scope:SCOPE_SE
	s_wait_dscnt 0x0
	s_barrier_signal -1
	s_barrier_wait -1
	global_inv scope:SCOPE_SE
	ds_load_b128 v[36:39], v212 offset:4752
	ds_load_b128 v[40:43], v212 offset:9504
	;; [unrolled: 1-line block ×7, first 2 shown]
	s_wait_dscnt 0x6
	v_mul_f64_e32 v[64:65], v[98:99], v[38:39]
	s_wait_dscnt 0x5
	v_mul_f64_e32 v[66:67], v[94:95], v[42:43]
	v_mul_f64_e32 v[68:69], v[98:99], v[36:37]
	v_mul_f64_e32 v[70:71], v[94:95], v[40:41]
	s_wait_dscnt 0x4
	v_mul_f64_e32 v[72:73], v[106:107], v[46:47]
	s_wait_dscnt 0x3
	v_mul_f64_e32 v[74:75], v[102:103], v[50:51]
	v_mul_f64_e32 v[76:77], v[106:107], v[44:45]
	v_mul_f64_e32 v[78:79], v[102:103], v[48:49]
	;; [unrolled: 6-line block ×3, first 2 shown]
	v_fma_f64 v[64:65], v[96:97], v[36:37], v[64:65]
	v_fma_f64 v[66:67], v[92:93], v[40:41], v[66:67]
	v_fma_f64 v[68:69], v[96:97], v[38:39], -v[68:69]
	v_fma_f64 v[70:71], v[92:93], v[42:43], -v[70:71]
	v_fma_f64 v[44:45], v[104:105], v[44:45], v[72:73]
	v_fma_f64 v[48:49], v[100:101], v[48:49], v[74:75]
	v_fma_f64 v[46:47], v[104:105], v[46:47], -v[76:77]
	v_fma_f64 v[50:51], v[100:101], v[50:51], -v[78:79]
	;; [unrolled: 4-line block ×3, first 2 shown]
	ds_load_b128 v[36:39], v212
	ds_load_b128 v[40:43], v212 offset:1584
	s_wait_dscnt 0x1
	v_add_f64_e32 v[84:85], v[36:37], v[64:65]
	v_add_f64_e32 v[72:73], v[64:65], v[66:67]
	v_add_f64_e64 v[64:65], v[64:65], -v[66:67]
	v_add_f64_e32 v[74:75], v[68:69], v[70:71]
	v_add_f64_e64 v[86:87], v[68:69], -v[70:71]
	v_add_f64_e32 v[76:77], v[44:45], v[48:49]
	v_add_f64_e32 v[68:69], v[38:39], v[68:69]
	;; [unrolled: 1-line block ×3, first 2 shown]
	s_wait_dscnt 0x0
	v_add_f64_e32 v[88:89], v[40:41], v[44:45]
	v_add_f64_e32 v[80:81], v[52:53], v[56:57]
	;; [unrolled: 1-line block ×6, first 2 shown]
	v_add_f64_e64 v[96:97], v[46:47], -v[50:51]
	v_add_f64_e64 v[98:99], v[44:45], -v[48:49]
	v_add_f64_e64 v[100:101], v[54:55], -v[58:59]
	v_add_f64_e64 v[102:103], v[52:53], -v[56:57]
	v_fma_f64 v[72:73], v[72:73], -0.5, v[36:37]
	v_add_f64_e32 v[36:37], v[84:85], v[66:67]
	v_fma_f64 v[74:75], v[74:75], -0.5, v[38:39]
	v_fma_f64 v[76:77], v[76:77], -0.5, v[40:41]
	v_add_f64_e32 v[38:39], v[68:69], v[70:71]
	v_fma_f64 v[78:79], v[78:79], -0.5, v[42:43]
	v_add_f64_e32 v[40:41], v[88:89], v[48:49]
	;; [unrolled: 2-line block ×4, first 2 shown]
	v_add_f64_e32 v[46:47], v[94:95], v[58:59]
	v_fma_f64 v[48:49], v[86:87], s[2:3], v[72:73]
	v_fma_f64 v[52:53], v[86:87], s[8:9], v[72:73]
	;; [unrolled: 1-line block ×12, first 2 shown]
	v_mad_co_u64_u32 v[72:73], null, s6, v160, 0
	v_mad_co_u64_u32 v[74:75], null, s4, v211, 0
	s_mov_b32 s2, 0x7210aa18
	s_mov_b32 s3, 0x3f526369
	ds_store_b128 v212, v[36:39]
	ds_store_b128 v212, v[40:43] offset:1584
	ds_store_b128 v212, v[48:51] offset:4752
	;; [unrolled: 1-line block ×8, first 2 shown]
	global_wb scope:SCOPE_SE
	s_wait_dscnt 0x0
	s_barrier_signal -1
	s_barrier_wait -1
	global_inv scope:SCOPE_SE
	ds_load_b128 v[36:39], v212
	ds_load_b128 v[40:43], v212 offset:1584
	ds_load_b128 v[44:47], v212 offset:3168
	;; [unrolled: 1-line block ×8, first 2 shown]
	v_mad_co_u64_u32 v[94:95], null, s7, v160, v[73:74]
	s_delay_alu instid0(VALU_DEP_1)
	v_mov_b32_e32 v73, v94
	s_wait_dscnt 0x8
	v_mul_f64_e32 v[76:77], v[2:3], v[38:39]
	v_mul_f64_e32 v[2:3], v[2:3], v[36:37]
	s_wait_dscnt 0x7
	v_mul_f64_e32 v[78:79], v[6:7], v[42:43]
	v_mul_f64_e32 v[6:7], v[6:7], v[40:41]
	;; [unrolled: 3-line block ×9, first 2 shown]
	v_lshlrev_b64_e32 v[72:73], 4, v[72:73]
	v_fma_f64 v[36:37], v[0:1], v[36:37], v[76:77]
	v_fma_f64 v[2:3], v[0:1], v[38:39], -v[2:3]
	v_fma_f64 v[38:39], v[4:5], v[40:41], v[78:79]
	v_fma_f64 v[6:7], v[4:5], v[42:43], -v[6:7]
	;; [unrolled: 2-line block ×9, first 2 shown]
	v_mad_co_u64_u32 v[95:96], null, s5, v211, v[75:76]
	v_add_co_u32 v0, vcc_lo, s0, v72
	s_wait_alu 0xfffd
	v_add_co_ci_u32_e32 v1, vcc_lo, s1, v73, vcc_lo
	s_mul_u64 s[0:1], s[4:5], 0x630
	s_delay_alu instid0(VALU_DEP_3) | instskip(NEXT) | instid1(VALU_DEP_1)
	v_mov_b32_e32 v75, v95
	v_lshlrev_b64_e32 v[74:75], 4, v[74:75]
	s_delay_alu instid0(VALU_DEP_1) | instskip(SKIP_1) | instid1(VALU_DEP_2)
	v_add_co_u32 v54, vcc_lo, v0, v74
	s_wait_alu 0xfffd
	v_add_co_ci_u32_e32 v55, vcc_lo, v1, v75, vcc_lo
	s_wait_alu 0xfffe
	v_mul_f64_e32 v[0:1], s[2:3], v[36:37]
	v_mul_f64_e32 v[2:3], s[2:3], v[2:3]
	v_add_co_u32 v56, vcc_lo, v54, s0
	v_mul_f64_e32 v[4:5], s[2:3], v[38:39]
	v_mul_f64_e32 v[6:7], s[2:3], v[6:7]
	v_mul_f64_e32 v[8:9], s[2:3], v[40:41]
	v_mul_f64_e32 v[10:11], s[2:3], v[10:11]
	s_wait_alu 0xfffd
	v_add_co_ci_u32_e32 v57, vcc_lo, s1, v55, vcc_lo
	v_mul_f64_e32 v[12:13], s[2:3], v[42:43]
	v_mul_f64_e32 v[14:15], s[2:3], v[14:15]
	;; [unrolled: 1-line block ×6, first 2 shown]
	v_add_co_u32 v58, vcc_lo, v56, s0
	v_mul_f64_e32 v[24:25], s[2:3], v[48:49]
	v_mul_f64_e32 v[26:27], s[2:3], v[28:29]
	;; [unrolled: 1-line block ×4, first 2 shown]
	s_wait_alu 0xfffd
	v_add_co_ci_u32_e32 v59, vcc_lo, s1, v57, vcc_lo
	v_mul_f64_e32 v[32:33], s[2:3], v[52:53]
	v_mul_f64_e32 v[34:35], s[2:3], v[34:35]
	v_add_co_u32 v36, vcc_lo, v58, s0
	s_wait_alu 0xfffd
	v_add_co_ci_u32_e32 v37, vcc_lo, s1, v59, vcc_lo
	s_delay_alu instid0(VALU_DEP_2) | instskip(SKIP_1) | instid1(VALU_DEP_2)
	v_add_co_u32 v38, vcc_lo, v36, s0
	s_wait_alu 0xfffd
	v_add_co_ci_u32_e32 v39, vcc_lo, s1, v37, vcc_lo
	s_delay_alu instid0(VALU_DEP_2) | instskip(SKIP_1) | instid1(VALU_DEP_2)
	;; [unrolled: 4-line block ×5, first 2 shown]
	v_add_co_u32 v46, vcc_lo, v44, s0
	s_wait_alu 0xfffd
	v_add_co_ci_u32_e32 v47, vcc_lo, s1, v45, vcc_lo
	s_clause 0x4
	global_store_b128 v[54:55], v[0:3], off
	global_store_b128 v[56:57], v[4:7], off
	;; [unrolled: 1-line block ×9, first 2 shown]
.LBB0_10:
	s_nop 0
	s_sendmsg sendmsg(MSG_DEALLOC_VGPRS)
	s_endpgm
	.section	.rodata,"a",@progbits
	.p2align	6, 0x0
	.amdhsa_kernel bluestein_single_fwd_len891_dim1_dp_op_CI_CI
		.amdhsa_group_segment_fixed_size 28512
		.amdhsa_private_segment_fixed_size 0
		.amdhsa_kernarg_size 104
		.amdhsa_user_sgpr_count 2
		.amdhsa_user_sgpr_dispatch_ptr 0
		.amdhsa_user_sgpr_queue_ptr 0
		.amdhsa_user_sgpr_kernarg_segment_ptr 1
		.amdhsa_user_sgpr_dispatch_id 0
		.amdhsa_user_sgpr_private_segment_size 0
		.amdhsa_wavefront_size32 1
		.amdhsa_uses_dynamic_stack 0
		.amdhsa_enable_private_segment 0
		.amdhsa_system_sgpr_workgroup_id_x 1
		.amdhsa_system_sgpr_workgroup_id_y 0
		.amdhsa_system_sgpr_workgroup_id_z 0
		.amdhsa_system_sgpr_workgroup_info 0
		.amdhsa_system_vgpr_workitem_id 0
		.amdhsa_next_free_vgpr 248
		.amdhsa_next_free_sgpr 42
		.amdhsa_reserve_vcc 1
		.amdhsa_float_round_mode_32 0
		.amdhsa_float_round_mode_16_64 0
		.amdhsa_float_denorm_mode_32 3
		.amdhsa_float_denorm_mode_16_64 3
		.amdhsa_fp16_overflow 0
		.amdhsa_workgroup_processor_mode 1
		.amdhsa_memory_ordered 1
		.amdhsa_forward_progress 0
		.amdhsa_round_robin_scheduling 0
		.amdhsa_exception_fp_ieee_invalid_op 0
		.amdhsa_exception_fp_denorm_src 0
		.amdhsa_exception_fp_ieee_div_zero 0
		.amdhsa_exception_fp_ieee_overflow 0
		.amdhsa_exception_fp_ieee_underflow 0
		.amdhsa_exception_fp_ieee_inexact 0
		.amdhsa_exception_int_div_zero 0
	.end_amdhsa_kernel
	.text
.Lfunc_end0:
	.size	bluestein_single_fwd_len891_dim1_dp_op_CI_CI, .Lfunc_end0-bluestein_single_fwd_len891_dim1_dp_op_CI_CI
                                        ; -- End function
	.section	.AMDGPU.csdata,"",@progbits
; Kernel info:
; codeLenInByte = 12748
; NumSgprs: 44
; NumVgprs: 248
; ScratchSize: 0
; MemoryBound: 0
; FloatMode: 240
; IeeeMode: 1
; LDSByteSize: 28512 bytes/workgroup (compile time only)
; SGPRBlocks: 5
; VGPRBlocks: 30
; NumSGPRsForWavesPerEU: 44
; NumVGPRsForWavesPerEU: 248
; Occupancy: 5
; WaveLimiterHint : 1
; COMPUTE_PGM_RSRC2:SCRATCH_EN: 0
; COMPUTE_PGM_RSRC2:USER_SGPR: 2
; COMPUTE_PGM_RSRC2:TRAP_HANDLER: 0
; COMPUTE_PGM_RSRC2:TGID_X_EN: 1
; COMPUTE_PGM_RSRC2:TGID_Y_EN: 0
; COMPUTE_PGM_RSRC2:TGID_Z_EN: 0
; COMPUTE_PGM_RSRC2:TIDIG_COMP_CNT: 0
	.text
	.p2alignl 7, 3214868480
	.fill 96, 4, 3214868480
	.type	__hip_cuid_5e9e5b57dea574d,@object ; @__hip_cuid_5e9e5b57dea574d
	.section	.bss,"aw",@nobits
	.globl	__hip_cuid_5e9e5b57dea574d
__hip_cuid_5e9e5b57dea574d:
	.byte	0                               ; 0x0
	.size	__hip_cuid_5e9e5b57dea574d, 1

	.ident	"AMD clang version 19.0.0git (https://github.com/RadeonOpenCompute/llvm-project roc-6.4.0 25133 c7fe45cf4b819c5991fe208aaa96edf142730f1d)"
	.section	".note.GNU-stack","",@progbits
	.addrsig
	.addrsig_sym __hip_cuid_5e9e5b57dea574d
	.amdgpu_metadata
---
amdhsa.kernels:
  - .args:
      - .actual_access:  read_only
        .address_space:  global
        .offset:         0
        .size:           8
        .value_kind:     global_buffer
      - .actual_access:  read_only
        .address_space:  global
        .offset:         8
        .size:           8
        .value_kind:     global_buffer
      - .actual_access:  read_only
        .address_space:  global
        .offset:         16
        .size:           8
        .value_kind:     global_buffer
      - .actual_access:  read_only
        .address_space:  global
        .offset:         24
        .size:           8
        .value_kind:     global_buffer
      - .actual_access:  read_only
        .address_space:  global
        .offset:         32
        .size:           8
        .value_kind:     global_buffer
      - .offset:         40
        .size:           8
        .value_kind:     by_value
      - .address_space:  global
        .offset:         48
        .size:           8
        .value_kind:     global_buffer
      - .address_space:  global
        .offset:         56
        .size:           8
        .value_kind:     global_buffer
      - .address_space:  global
        .offset:         64
        .size:           8
        .value_kind:     global_buffer
      - .address_space:  global
        .offset:         72
        .size:           8
        .value_kind:     global_buffer
      - .offset:         80
        .size:           4
        .value_kind:     by_value
      - .address_space:  global
        .offset:         88
        .size:           8
        .value_kind:     global_buffer
      - .address_space:  global
        .offset:         96
        .size:           8
        .value_kind:     global_buffer
    .group_segment_fixed_size: 28512
    .kernarg_segment_align: 8
    .kernarg_segment_size: 104
    .language:       OpenCL C
    .language_version:
      - 2
      - 0
    .max_flat_workgroup_size: 198
    .name:           bluestein_single_fwd_len891_dim1_dp_op_CI_CI
    .private_segment_fixed_size: 0
    .sgpr_count:     44
    .sgpr_spill_count: 0
    .symbol:         bluestein_single_fwd_len891_dim1_dp_op_CI_CI.kd
    .uniform_work_group_size: 1
    .uses_dynamic_stack: false
    .vgpr_count:     248
    .vgpr_spill_count: 0
    .wavefront_size: 32
    .workgroup_processor_mode: 1
amdhsa.target:   amdgcn-amd-amdhsa--gfx1201
amdhsa.version:
  - 1
  - 2
...

	.end_amdgpu_metadata
